;; amdgpu-corpus repo=ROCm/rocFFT kind=compiled arch=gfx1030 opt=O3
	.text
	.amdgcn_target "amdgcn-amd-amdhsa--gfx1030"
	.amdhsa_code_object_version 6
	.protected	fft_rtc_back_len1683_factors_17_3_11_3_wgs_51_tpt_51_halfLds_dp_ip_CI_unitstride_sbrr_dirReg ; -- Begin function fft_rtc_back_len1683_factors_17_3_11_3_wgs_51_tpt_51_halfLds_dp_ip_CI_unitstride_sbrr_dirReg
	.globl	fft_rtc_back_len1683_factors_17_3_11_3_wgs_51_tpt_51_halfLds_dp_ip_CI_unitstride_sbrr_dirReg
	.p2align	8
	.type	fft_rtc_back_len1683_factors_17_3_11_3_wgs_51_tpt_51_halfLds_dp_ip_CI_unitstride_sbrr_dirReg,@function
fft_rtc_back_len1683_factors_17_3_11_3_wgs_51_tpt_51_halfLds_dp_ip_CI_unitstride_sbrr_dirReg: ; @fft_rtc_back_len1683_factors_17_3_11_3_wgs_51_tpt_51_halfLds_dp_ip_CI_unitstride_sbrr_dirReg
; %bb.0:
	s_clause 0x2
	s_load_dwordx4 s[8:11], s[4:5], 0x0
	s_load_dwordx2 s[2:3], s[4:5], 0x50
	s_load_dwordx2 s[12:13], s[4:5], 0x18
	v_mul_u32_u24_e32 v1, 0x506, v0
	v_mov_b32_e32 v3, 0
	v_add_nc_u32_sdwa v5, s6, v1 dst_sel:DWORD dst_unused:UNUSED_PAD src0_sel:DWORD src1_sel:WORD_1
	v_mov_b32_e32 v1, 0
	v_mov_b32_e32 v6, v3
	v_mov_b32_e32 v2, 0
	s_waitcnt lgkmcnt(0)
	v_cmp_lt_u64_e64 s0, s[10:11], 2
	s_and_b32 vcc_lo, exec_lo, s0
	s_cbranch_vccnz .LBB0_8
; %bb.1:
	s_load_dwordx2 s[0:1], s[4:5], 0x10
	v_mov_b32_e32 v1, 0
	s_add_u32 s6, s12, 8
	v_mov_b32_e32 v2, 0
	s_addc_u32 s7, s13, 0
	s_mov_b64 s[16:17], 1
	s_waitcnt lgkmcnt(0)
	s_add_u32 s14, s0, 8
	s_addc_u32 s15, s1, 0
.LBB0_2:                                ; =>This Inner Loop Header: Depth=1
	s_load_dwordx2 s[18:19], s[14:15], 0x0
                                        ; implicit-def: $vgpr7_vgpr8
	s_mov_b32 s0, exec_lo
	s_waitcnt lgkmcnt(0)
	v_or_b32_e32 v4, s19, v6
	v_cmpx_ne_u64_e32 0, v[3:4]
	s_xor_b32 s1, exec_lo, s0
	s_cbranch_execz .LBB0_4
; %bb.3:                                ;   in Loop: Header=BB0_2 Depth=1
	v_cvt_f32_u32_e32 v4, s18
	v_cvt_f32_u32_e32 v7, s19
	s_sub_u32 s0, 0, s18
	s_subb_u32 s20, 0, s19
	v_fmac_f32_e32 v4, 0x4f800000, v7
	v_rcp_f32_e32 v4, v4
	v_mul_f32_e32 v4, 0x5f7ffffc, v4
	v_mul_f32_e32 v7, 0x2f800000, v4
	v_trunc_f32_e32 v7, v7
	v_fmac_f32_e32 v4, 0xcf800000, v7
	v_cvt_u32_f32_e32 v7, v7
	v_cvt_u32_f32_e32 v4, v4
	v_mul_lo_u32 v8, s0, v7
	v_mul_hi_u32 v9, s0, v4
	v_mul_lo_u32 v10, s20, v4
	v_add_nc_u32_e32 v8, v9, v8
	v_mul_lo_u32 v9, s0, v4
	v_add_nc_u32_e32 v8, v8, v10
	v_mul_hi_u32 v10, v4, v9
	v_mul_lo_u32 v11, v4, v8
	v_mul_hi_u32 v12, v4, v8
	v_mul_hi_u32 v13, v7, v9
	v_mul_lo_u32 v9, v7, v9
	v_mul_hi_u32 v14, v7, v8
	v_mul_lo_u32 v8, v7, v8
	v_add_co_u32 v10, vcc_lo, v10, v11
	v_add_co_ci_u32_e32 v11, vcc_lo, 0, v12, vcc_lo
	v_add_co_u32 v9, vcc_lo, v10, v9
	v_add_co_ci_u32_e32 v9, vcc_lo, v11, v13, vcc_lo
	v_add_co_ci_u32_e32 v10, vcc_lo, 0, v14, vcc_lo
	v_add_co_u32 v8, vcc_lo, v9, v8
	v_add_co_ci_u32_e32 v9, vcc_lo, 0, v10, vcc_lo
	v_add_co_u32 v4, vcc_lo, v4, v8
	v_add_co_ci_u32_e32 v7, vcc_lo, v7, v9, vcc_lo
	v_mul_hi_u32 v8, s0, v4
	v_mul_lo_u32 v10, s20, v4
	v_mul_lo_u32 v9, s0, v7
	v_add_nc_u32_e32 v8, v8, v9
	v_mul_lo_u32 v9, s0, v4
	v_add_nc_u32_e32 v8, v8, v10
	v_mul_hi_u32 v10, v4, v9
	v_mul_lo_u32 v11, v4, v8
	v_mul_hi_u32 v12, v4, v8
	v_mul_hi_u32 v13, v7, v9
	v_mul_lo_u32 v9, v7, v9
	v_mul_hi_u32 v14, v7, v8
	v_mul_lo_u32 v8, v7, v8
	v_add_co_u32 v10, vcc_lo, v10, v11
	v_add_co_ci_u32_e32 v11, vcc_lo, 0, v12, vcc_lo
	v_add_co_u32 v9, vcc_lo, v10, v9
	v_add_co_ci_u32_e32 v9, vcc_lo, v11, v13, vcc_lo
	v_add_co_ci_u32_e32 v10, vcc_lo, 0, v14, vcc_lo
	v_add_co_u32 v8, vcc_lo, v9, v8
	v_add_co_ci_u32_e32 v9, vcc_lo, 0, v10, vcc_lo
	v_add_co_u32 v4, vcc_lo, v4, v8
	v_add_co_ci_u32_e32 v11, vcc_lo, v7, v9, vcc_lo
	v_mul_hi_u32 v13, v5, v4
	v_mad_u64_u32 v[9:10], null, v6, v4, 0
	v_mad_u64_u32 v[7:8], null, v5, v11, 0
	;; [unrolled: 1-line block ×3, first 2 shown]
	v_add_co_u32 v4, vcc_lo, v13, v7
	v_add_co_ci_u32_e32 v7, vcc_lo, 0, v8, vcc_lo
	v_add_co_u32 v4, vcc_lo, v4, v9
	v_add_co_ci_u32_e32 v4, vcc_lo, v7, v10, vcc_lo
	v_add_co_ci_u32_e32 v7, vcc_lo, 0, v12, vcc_lo
	v_add_co_u32 v4, vcc_lo, v4, v11
	v_add_co_ci_u32_e32 v9, vcc_lo, 0, v7, vcc_lo
	v_mul_lo_u32 v10, s19, v4
	v_mad_u64_u32 v[7:8], null, s18, v4, 0
	v_mul_lo_u32 v11, s18, v9
	v_sub_co_u32 v7, vcc_lo, v5, v7
	v_add3_u32 v8, v8, v11, v10
	v_sub_nc_u32_e32 v10, v6, v8
	v_subrev_co_ci_u32_e64 v10, s0, s19, v10, vcc_lo
	v_add_co_u32 v11, s0, v4, 2
	v_add_co_ci_u32_e64 v12, s0, 0, v9, s0
	v_sub_co_u32 v13, s0, v7, s18
	v_sub_co_ci_u32_e32 v8, vcc_lo, v6, v8, vcc_lo
	v_subrev_co_ci_u32_e64 v10, s0, 0, v10, s0
	v_cmp_le_u32_e32 vcc_lo, s18, v13
	v_cmp_eq_u32_e64 s0, s19, v8
	v_cndmask_b32_e64 v13, 0, -1, vcc_lo
	v_cmp_le_u32_e32 vcc_lo, s19, v10
	v_cndmask_b32_e64 v14, 0, -1, vcc_lo
	v_cmp_le_u32_e32 vcc_lo, s18, v7
	;; [unrolled: 2-line block ×3, first 2 shown]
	v_cndmask_b32_e64 v15, 0, -1, vcc_lo
	v_cmp_eq_u32_e32 vcc_lo, s19, v10
	v_cndmask_b32_e64 v7, v15, v7, s0
	v_cndmask_b32_e32 v10, v14, v13, vcc_lo
	v_add_co_u32 v13, vcc_lo, v4, 1
	v_add_co_ci_u32_e32 v14, vcc_lo, 0, v9, vcc_lo
	v_cmp_ne_u32_e32 vcc_lo, 0, v10
	v_cndmask_b32_e32 v8, v14, v12, vcc_lo
	v_cndmask_b32_e32 v10, v13, v11, vcc_lo
	v_cmp_ne_u32_e32 vcc_lo, 0, v7
	v_cndmask_b32_e32 v8, v9, v8, vcc_lo
	v_cndmask_b32_e32 v7, v4, v10, vcc_lo
.LBB0_4:                                ;   in Loop: Header=BB0_2 Depth=1
	s_andn2_saveexec_b32 s0, s1
	s_cbranch_execz .LBB0_6
; %bb.5:                                ;   in Loop: Header=BB0_2 Depth=1
	v_cvt_f32_u32_e32 v4, s18
	s_sub_i32 s1, 0, s18
	v_rcp_iflag_f32_e32 v4, v4
	v_mul_f32_e32 v4, 0x4f7ffffe, v4
	v_cvt_u32_f32_e32 v4, v4
	v_mul_lo_u32 v7, s1, v4
	v_mul_hi_u32 v7, v4, v7
	v_add_nc_u32_e32 v4, v4, v7
	v_mul_hi_u32 v4, v5, v4
	v_mul_lo_u32 v7, v4, s18
	v_add_nc_u32_e32 v8, 1, v4
	v_sub_nc_u32_e32 v7, v5, v7
	v_subrev_nc_u32_e32 v9, s18, v7
	v_cmp_le_u32_e32 vcc_lo, s18, v7
	v_cndmask_b32_e32 v7, v7, v9, vcc_lo
	v_cndmask_b32_e32 v4, v4, v8, vcc_lo
	v_cmp_le_u32_e32 vcc_lo, s18, v7
	v_add_nc_u32_e32 v8, 1, v4
	v_cndmask_b32_e32 v7, v4, v8, vcc_lo
	v_mov_b32_e32 v8, v3
.LBB0_6:                                ;   in Loop: Header=BB0_2 Depth=1
	s_or_b32 exec_lo, exec_lo, s0
	s_load_dwordx2 s[0:1], s[6:7], 0x0
	v_mul_lo_u32 v4, v8, s18
	v_mul_lo_u32 v11, v7, s19
	v_mad_u64_u32 v[9:10], null, v7, s18, 0
	s_add_u32 s16, s16, 1
	s_addc_u32 s17, s17, 0
	s_add_u32 s6, s6, 8
	s_addc_u32 s7, s7, 0
	;; [unrolled: 2-line block ×3, first 2 shown]
	v_add3_u32 v4, v10, v11, v4
	v_sub_co_u32 v5, vcc_lo, v5, v9
	v_sub_co_ci_u32_e32 v4, vcc_lo, v6, v4, vcc_lo
	s_waitcnt lgkmcnt(0)
	v_mul_lo_u32 v6, s1, v5
	v_mul_lo_u32 v4, s0, v4
	v_mad_u64_u32 v[1:2], null, s0, v5, v[1:2]
	v_cmp_ge_u64_e64 s0, s[16:17], s[10:11]
	s_and_b32 vcc_lo, exec_lo, s0
	v_add3_u32 v2, v6, v2, v4
	s_cbranch_vccnz .LBB0_9
; %bb.7:                                ;   in Loop: Header=BB0_2 Depth=1
	v_mov_b32_e32 v5, v7
	v_mov_b32_e32 v6, v8
	s_branch .LBB0_2
.LBB0_8:
	v_mov_b32_e32 v8, v6
	v_mov_b32_e32 v7, v5
.LBB0_9:
	s_lshl_b64 s[0:1], s[10:11], 3
	v_mul_hi_u32 v5, 0x5050506, v0
	s_add_u32 s0, s12, s0
	s_addc_u32 s1, s13, s1
                                        ; implicit-def: $vgpr14_vgpr15
                                        ; implicit-def: $vgpr38_vgpr39
                                        ; implicit-def: $vgpr50_vgpr51
                                        ; implicit-def: $vgpr54_vgpr55
                                        ; implicit-def: $vgpr62_vgpr63
                                        ; implicit-def: $vgpr66_vgpr67
                                        ; implicit-def: $vgpr22_vgpr23
                                        ; implicit-def: $vgpr18_vgpr19
                                        ; implicit-def: $vgpr58_vgpr59
                                        ; implicit-def: $vgpr46_vgpr47
                                        ; implicit-def: $vgpr42_vgpr43
                                        ; implicit-def: $vgpr34_vgpr35
                                        ; implicit-def: $vgpr30_vgpr31
                                        ; implicit-def: $vgpr10_vgpr11
                                        ; implicit-def: $vgpr26_vgpr27
                                        ; implicit-def: $vgpr134_vgpr135
                                        ; implicit-def: $vgpr130_vgpr131
                                        ; implicit-def: $vgpr126_vgpr127
                                        ; implicit-def: $vgpr118_vgpr119
                                        ; implicit-def: $vgpr106_vgpr107
                                        ; implicit-def: $vgpr94_vgpr95
                                        ; implicit-def: $vgpr86_vgpr87
                                        ; implicit-def: $vgpr74_vgpr75
                                        ; implicit-def: $vgpr70_vgpr71
                                        ; implicit-def: $vgpr78_vgpr79
                                        ; implicit-def: $vgpr82_vgpr83
                                        ; implicit-def: $vgpr90_vgpr91
                                        ; implicit-def: $vgpr98_vgpr99
                                        ; implicit-def: $vgpr102_vgpr103
                                        ; implicit-def: $vgpr110_vgpr111
                                        ; implicit-def: $vgpr122_vgpr123
                                        ; implicit-def: $vgpr114_vgpr115
	s_load_dwordx2 s[0:1], s[0:1], 0x0
	s_load_dwordx2 s[4:5], s[4:5], 0x20
	s_waitcnt lgkmcnt(0)
	v_mul_lo_u32 v3, s0, v8
	v_mul_lo_u32 v4, s1, v7
	v_mad_u64_u32 v[1:2], null, s0, v7, v[1:2]
	v_cmp_gt_u64_e32 vcc_lo, s[4:5], v[7:8]
                                        ; implicit-def: $vgpr6_vgpr7
	v_add3_u32 v2, v4, v2, v3
	v_mul_u32_u24_e32 v3, 51, v5
	v_lshlrev_b64 v[138:139], 4, v[1:2]
	v_sub_nc_u32_e32 v136, v0, v3
                                        ; implicit-def: $vgpr2_vgpr3
	s_and_saveexec_b32 s1, vcc_lo
	s_cbranch_execz .LBB0_13
; %bb.10:
	v_mov_b32_e32 v137, 0
	v_add_co_u32 v66, s0, s2, v138
	v_add_co_ci_u32_e64 v67, s0, s3, v139, s0
	v_lshlrev_b64 v[0:1], 4, v[136:137]
	s_mov_b32 s4, exec_lo
                                        ; implicit-def: $vgpr24_vgpr25
                                        ; implicit-def: $vgpr8_vgpr9
                                        ; implicit-def: $vgpr28_vgpr29
                                        ; implicit-def: $vgpr32_vgpr33
                                        ; implicit-def: $vgpr40_vgpr41
                                        ; implicit-def: $vgpr44_vgpr45
                                        ; implicit-def: $vgpr56_vgpr57
                                        ; implicit-def: $vgpr16_vgpr17
                                        ; implicit-def: $vgpr20_vgpr21
                                        ; implicit-def: $vgpr64_vgpr65
                                        ; implicit-def: $vgpr60_vgpr61
                                        ; implicit-def: $vgpr52_vgpr53
                                        ; implicit-def: $vgpr48_vgpr49
                                        ; implicit-def: $vgpr36_vgpr37
                                        ; implicit-def: $vgpr12_vgpr13
                                        ; implicit-def: $vgpr4_vgpr5
	v_add_co_u32 v2, s0, v66, v0
	v_add_co_ci_u32_e64 v3, s0, v67, v1, s0
                                        ; implicit-def: $vgpr0_vgpr1
	v_add_co_u32 v6, s0, 0x800, v2
	v_add_co_ci_u32_e64 v7, s0, 0, v3, s0
	v_add_co_u32 v14, s0, 0x1000, v2
	v_add_co_ci_u32_e64 v15, s0, 0, v3, s0
	;; [unrolled: 2-line block ×11, first 2 shown]
	v_add_co_u32 v144, s0, 0x6000, v2
	s_clause 0x9
	global_load_dwordx4 v[112:115], v[2:3], off
	global_load_dwordx4 v[120:123], v[2:3], off offset:1584
	global_load_dwordx4 v[108:111], v[6:7], off offset:1120
	;; [unrolled: 1-line block ×9, first 2 shown]
	v_add_co_ci_u32_e64 v145, s0, 0, v3, s0
	s_clause 0x6
	global_load_dwordx4 v[84:87], v[54:55], off offset:1504
	global_load_dwordx4 v[92:95], v[62:63], off offset:1040
	;; [unrolled: 1-line block ×7, first 2 shown]
	v_cmpx_gt_u32_e32 48, v136
; %bb.11:
	v_or_b32_e32 v4, 0x600, v136
	v_mov_b32_e32 v5, v137
	s_clause 0x9
	global_load_dwordx4 v[0:3], v[2:3], off offset:816
	global_load_dwordx4 v[24:27], v[6:7], off offset:352
	;; [unrolled: 1-line block ×10, first 2 shown]
	v_lshlrev_b64 v[4:5], 4, v[4:5]
	v_add_co_u32 v4, s0, v66, v4
	v_add_co_ci_u32_e64 v5, s0, v67, v5, s0
	s_clause 0x6
	global_load_dwordx4 v[64:67], v[62:63], off offset:272
	global_load_dwordx4 v[60:63], v[62:63], off offset:1856
	;; [unrolled: 1-line block ×4, first 2 shown]
	global_load_dwordx4 v[12:15], v[4:5], off
	global_load_dwordx4 v[36:39], v[146:147], off offset:464
	global_load_dwordx4 v[4:7], v[144:145], off offset:1584
; %bb.12:
	s_or_b32 exec_lo, exec_lo, s4
.LBB0_13:
	s_or_b32 exec_lo, exec_lo, s1
	s_waitcnt vmcnt(15)
	v_add_f64 v[140:141], v[120:121], v[112:113]
	s_waitcnt vmcnt(0)
	v_add_f64 v[144:145], v[122:123], -v[134:135]
	s_mov_b32 s40, 0x5d8e7cdc
	s_mov_b32 s41, 0xbfd71e95
	v_add_f64 v[142:143], v[132:133], v[120:121]
	v_add_f64 v[146:147], v[110:111], -v[130:131]
	s_mov_b32 s10, 0x370991
	s_mov_b32 s42, 0x2a9d6da3
	;; [unrolled: 1-line block ×16, first 2 shown]
	v_add_f64 v[140:141], v[108:109], v[140:141]
	v_mul_f64 v[158:159], v[144:145], s[40:41]
	s_mov_b32 s51, 0x3fe0d888
	s_mov_b32 s49, 0x3feec746
	;; [unrolled: 1-line block ×8, first 2 shown]
	v_add_f64 v[148:149], v[128:129], v[108:109]
	v_mul_f64 v[160:161], v[144:145], s[42:43]
	v_mul_f64 v[162:163], v[144:145], s[46:47]
	;; [unrolled: 1-line block ×11, first 2 shown]
	v_add_f64 v[140:141], v[100:101], v[140:141]
	v_mul_f64 v[180:181], v[146:147], s[50:51]
	v_mul_f64 v[182:183], v[146:147], s[48:49]
	;; [unrolled: 1-line block ×4, first 2 shown]
	v_fma_f64 v[210:211], v[142:143], s[10:11], v[158:159]
	s_mov_b32 s4, 0x75d4884
	s_mov_b32 s6, 0x2b2883cd
	;; [unrolled: 1-line block ×14, first 2 shown]
	v_add_f64 v[150:151], v[102:103], -v[126:127]
	v_add_f64 v[156:157], v[98:99], -v[118:119]
	v_add_f64 v[140:141], v[96:97], v[140:141]
	v_fma_f64 v[158:159], v[142:143], s[10:11], -v[158:159]
	v_fma_f64 v[212:213], v[142:143], s[4:5], v[160:161]
	v_fma_f64 v[160:161], v[142:143], s[4:5], -v[160:161]
	v_fma_f64 v[214:215], v[142:143], s[6:7], v[162:163]
	;; [unrolled: 2-line block ×8, first 2 shown]
	v_fma_f64 v[238:239], v[148:149], s[10:11], v[146:147]
	v_fma_f64 v[240:241], v[148:149], s[10:11], -v[146:147]
	v_add_f64 v[146:147], v[112:113], v[210:211]
	s_mov_b32 s55, 0x3fc7851a
	s_mov_b32 s31, 0x3fe58eea
	v_add_f64 v[140:141], v[88:89], v[140:141]
	s_mov_b32 s53, 0x3fe9895b
	s_mov_b32 s54, s34
	;; [unrolled: 1-line block ×4, first 2 shown]
	v_add_f64 v[152:153], v[124:125], v[100:101]
	v_add_f64 v[154:155], v[116:117], v[96:97]
	v_mul_f64 v[186:187], v[150:151], s[46:47]
	v_mul_f64 v[188:189], v[150:151], s[18:19]
	;; [unrolled: 1-line block ×13, first 2 shown]
	v_fma_f64 v[144:145], v[148:149], s[4:5], -v[172:173]
	v_fma_f64 v[172:173], v[148:149], s[12:13], v[174:175]
	v_add_f64 v[140:141], v[80:81], v[140:141]
	v_fma_f64 v[174:175], v[148:149], s[12:13], -v[174:175]
	v_fma_f64 v[228:229], v[148:149], s[20:21], v[176:177]
	v_fma_f64 v[176:177], v[148:149], s[20:21], -v[176:177]
	v_fma_f64 v[230:231], v[148:149], s[36:37], v[178:179]
	;; [unrolled: 2-line block ×5, first 2 shown]
	v_fma_f64 v[184:185], v[148:149], s[6:7], -v[184:185]
	v_add_f64 v[148:149], v[112:113], v[158:159]
	v_add_f64 v[158:159], v[112:113], v[212:213]
	;; [unrolled: 1-line block ×12, first 2 shown]
	v_mul_f64 v[142:143], v[156:157], s[22:23]
	v_mul_f64 v[146:147], v[156:157], s[52:53]
	;; [unrolled: 1-line block ×3, first 2 shown]
	v_fma_f64 v[242:243], v[152:153], s[6:7], v[186:187]
	v_fma_f64 v[186:187], v[152:153], s[6:7], -v[186:187]
	v_fma_f64 v[218:219], v[152:153], s[20:21], v[188:189]
	v_fma_f64 v[188:189], v[152:153], s[20:21], -v[188:189]
	;; [unrolled: 2-line block ×3, first 2 shown]
	v_fma_f64 v[244:245], v[152:153], s[16:17], v[192:193]
	v_add_f64 v[168:169], v[112:113], v[168:169]
	v_add_f64 v[222:223], v[112:113], v[222:223]
	;; [unrolled: 1-line block ×15, first 2 shown]
	v_fma_f64 v[192:193], v[152:153], s[16:17], -v[192:193]
	v_fma_f64 v[210:211], v[152:153], s[4:5], v[194:195]
	v_fma_f64 v[194:195], v[152:153], s[4:5], -v[194:195]
	v_fma_f64 v[212:213], v[152:153], s[10:11], v[196:197]
	;; [unrolled: 2-line block ×12, first 2 shown]
	v_fma_f64 v[150:151], v[154:155], s[4:5], -v[156:157]
	v_add_f64 v[154:155], v[90:91], -v[106:107]
	v_add_f64 v[112:113], v[112:113], v[226:227]
	v_add_f64 v[156:157], v[72:73], v[180:181]
	;; [unrolled: 1-line block ×5, first 2 shown]
	v_add_f64 v[222:223], v[82:83], -v[94:95]
	v_add_f64 v[170:171], v[184:185], v[170:171]
	v_add_f64 v[224:225], v[238:239], v[224:225]
	;; [unrolled: 1-line block ×5, first 2 shown]
	s_mov_b32 s39, 0x3fefdd0d
	s_mov_b32 s38, s44
	v_add_f64 v[184:185], v[92:93], v[80:81]
	v_add_f64 v[186:187], v[186:187], v[248:249]
	;; [unrolled: 1-line block ×8, first 2 shown]
	v_mul_f64 v[226:227], v[154:155], s[14:15]
	v_add_f64 v[112:113], v[240:241], v[112:113]
	v_mul_f64 v[240:241], v[154:155], s[30:31]
	v_mul_f64 v[242:243], v[154:155], s[46:47]
	v_add_f64 v[156:157], v[84:85], v[156:157]
	v_mul_f64 v[236:237], v[154:155], s[50:51]
	v_mul_f64 v[218:219], v[154:155], s[34:35]
	;; [unrolled: 1-line block ×6, first 2 shown]
	v_add_f64 v[178:179], v[212:213], v[178:179]
	v_add_f64 v[168:169], v[196:197], v[168:169]
	;; [unrolled: 1-line block ×7, first 2 shown]
	v_mul_f64 v[244:245], v[222:223], s[48:49]
	v_mul_f64 v[192:193], v[222:223], s[40:41]
	;; [unrolled: 1-line block ×3, first 2 shown]
	v_add_f64 v[186:187], v[200:201], v[186:187]
	v_fma_f64 v[194:195], v[180:181], s[16:17], v[226:227]
	v_add_f64 v[112:113], v[152:153], v[112:113]
	v_fma_f64 v[196:197], v[180:181], s[4:5], v[240:241]
	v_fma_f64 v[214:215], v[180:181], s[6:7], v[242:243]
	v_add_f64 v[152:153], v[228:229], v[238:239]
	v_add_f64 v[156:157], v[92:93], v[156:157]
	v_fma_f64 v[226:227], v[180:181], s[16:17], -v[226:227]
	v_fma_f64 v[212:213], v[180:181], s[24:25], v[236:237]
	v_fma_f64 v[236:237], v[180:181], s[24:25], -v[236:237]
	v_fma_f64 v[240:241], v[180:181], s[4:5], -v[240:241]
	;; [unrolled: 1-line block ×3, first 2 shown]
	v_fma_f64 v[198:199], v[180:181], s[36:37], v[218:219]
	v_add_f64 v[158:159], v[230:231], v[158:159]
	v_add_f64 v[160:161], v[202:203], v[160:161]
	;; [unrolled: 1-line block ×3, first 2 shown]
	v_fma_f64 v[200:201], v[180:181], s[36:37], -v[218:219]
	v_fma_f64 v[202:203], v[180:181], s[12:13], v[188:189]
	v_add_f64 v[164:165], v[206:207], v[164:165]
	v_fma_f64 v[188:189], v[180:181], s[12:13], -v[188:189]
	v_add_f64 v[176:177], v[250:251], v[176:177]
	v_add_f64 v[166:167], v[208:209], v[166:167]
	v_fma_f64 v[204:205], v[180:181], s[10:11], v[220:221]
	v_fma_f64 v[206:207], v[180:181], s[10:11], -v[220:221]
	v_add_f64 v[140:141], v[140:141], v[178:179]
	v_add_f64 v[142:143], v[142:143], v[168:169]
	;; [unrolled: 1-line block ×9, first 2 shown]
	v_add_f64 v[172:173], v[78:79], -v[86:87]
	v_fma_f64 v[174:175], v[180:181], s[20:21], v[154:155]
	v_fma_f64 v[154:155], v[180:181], s[20:21], -v[154:155]
	v_fma_f64 v[178:179], v[184:185], s[20:21], v[190:191]
	v_mul_f64 v[180:181], v[222:223], s[38:39]
	v_add_f64 v[156:157], v[104:105], v[156:157]
	v_add_f64 v[152:153], v[226:227], v[186:187]
	;; [unrolled: 1-line block ×8, first 2 shown]
	v_fma_f64 v[182:183], v[184:185], s[20:21], -v[190:191]
	v_add_f64 v[140:141], v[202:203], v[140:141]
	v_fma_f64 v[186:187], v[184:185], s[16:17], v[244:245]
	v_fma_f64 v[190:191], v[184:185], s[16:17], -v[244:245]
	v_fma_f64 v[194:195], v[184:185], s[10:11], v[192:193]
	v_mul_f64 v[196:197], v[222:223], s[42:43]
	v_add_f64 v[142:143], v[188:189], v[142:143]
	v_fma_f64 v[188:189], v[184:185], s[10:11], -v[192:193]
	v_mul_f64 v[192:193], v[222:223], s[34:35]
	v_fma_f64 v[198:199], v[184:185], s[24:25], v[210:211]
	v_add_f64 v[144:145], v[204:205], v[144:145]
	v_mul_f64 v[200:201], v[222:223], s[26:27]
	v_add_f64 v[146:147], v[206:207], v[146:147]
	v_add_f64 v[202:203], v[84:85], v[76:77]
	v_mul_f64 v[204:205], v[172:173], s[22:23]
	v_add_f64 v[148:149], v[174:175], v[148:149]
	v_mul_f64 v[174:175], v[172:173], s[26:27]
	;; [unrolled: 2-line block ×3, first 2 shown]
	v_fma_f64 v[206:207], v[184:185], s[24:25], -v[210:211]
	v_add_f64 v[150:151], v[178:179], v[150:151]
	v_fma_f64 v[178:179], v[184:185], s[12:13], v[180:181]
	v_add_f64 v[156:157], v[116:117], v[156:157]
	v_add_f64 v[152:153], v[182:183], v[152:153]
	v_fma_f64 v[180:181], v[184:185], s[12:13], -v[180:181]
	v_add_f64 v[158:159], v[186:187], v[158:159]
	v_add_f64 v[160:161], v[190:191], v[160:161]
	;; [unrolled: 1-line block ×3, first 2 shown]
	v_fma_f64 v[182:183], v[184:185], s[4:5], v[196:197]
	v_fma_f64 v[186:187], v[184:185], s[4:5], -v[196:197]
	v_add_f64 v[162:163], v[188:189], v[162:163]
	v_fma_f64 v[188:189], v[184:185], s[36:37], v[192:193]
	v_add_f64 v[170:171], v[198:199], v[170:171]
	v_fma_f64 v[190:191], v[184:185], s[36:37], -v[192:193]
	v_fma_f64 v[192:193], v[184:185], s[6:7], v[200:201]
	v_mul_f64 v[194:195], v[172:173], s[52:53]
	v_fma_f64 v[184:185], v[184:185], s[6:7], -v[200:201]
	v_fma_f64 v[196:197], v[202:203], s[24:25], v[204:205]
	v_fma_f64 v[198:199], v[202:203], s[24:25], -v[204:205]
	v_fma_f64 v[200:201], v[202:203], s[6:7], v[174:175]
	v_mul_f64 v[204:205], v[172:173], s[40:41]
	v_fma_f64 v[208:209], v[202:203], s[12:13], v[154:155]
	v_mul_f64 v[210:211], v[172:173], s[34:35]
	v_add_f64 v[164:165], v[206:207], v[164:165]
	v_mul_f64 v[206:207], v[172:173], s[30:31]
	v_add_f64 v[176:177], v[178:179], v[176:177]
	v_mul_f64 v[172:173], v[172:173], s[14:15]
	v_add_f64 v[178:179], v[70:71], -v[74:75]
	v_fma_f64 v[174:175], v[202:203], s[6:7], -v[174:175]
	v_add_f64 v[166:167], v[180:181], v[166:167]
	v_add_f64 v[156:157], v[124:125], v[156:157]
	;; [unrolled: 1-line block ×5, first 2 shown]
	v_fma_f64 v[154:155], v[202:203], s[12:13], -v[154:155]
	v_add_f64 v[146:147], v[190:191], v[146:147]
	v_add_f64 v[148:149], v[192:193], v[148:149]
	v_fma_f64 v[180:181], v[202:203], s[20:21], v[194:195]
	v_add_f64 v[112:113], v[184:185], v[112:113]
	v_add_f64 v[150:151], v[196:197], v[150:151]
	;; [unrolled: 1-line block ×4, first 2 shown]
	v_fma_f64 v[182:183], v[202:203], s[20:21], -v[194:195]
	v_fma_f64 v[184:185], v[202:203], s[10:11], v[204:205]
	v_fma_f64 v[186:187], v[202:203], s[10:11], -v[204:205]
	v_fma_f64 v[188:189], v[202:203], s[36:37], v[210:211]
	;; [unrolled: 2-line block ×4, first 2 shown]
	v_fma_f64 v[172:173], v[202:203], s[16:17], -v[172:173]
	v_add_f64 v[198:199], v[72:73], v[68:69]
	v_mul_f64 v[200:201], v[178:179], s[34:35]
	v_mul_f64 v[202:203], v[178:179], s[28:29]
	v_add_f64 v[168:169], v[208:209], v[168:169]
	v_mul_f64 v[208:209], v[178:179], s[26:27]
	v_mul_f64 v[210:211], v[178:179], s[14:15]
	;; [unrolled: 3-line block ×3, first 2 shown]
	v_mul_f64 v[206:207], v[178:179], s[18:19]
	v_mul_f64 v[178:179], v[178:179], s[38:39]
	v_add_f64 v[154:155], v[154:155], v[162:163]
	v_add_f64 v[162:163], v[180:181], v[170:171]
	;; [unrolled: 1-line block ×12, first 2 shown]
	v_fma_f64 v[172:173], v[198:199], s[36:37], v[200:201]
	v_fma_f64 v[176:177], v[198:199], s[10:11], v[202:203]
	v_fma_f64 v[180:181], v[198:199], s[10:11], -v[202:203]
	v_fma_f64 v[196:197], v[198:199], s[6:7], -v[208:209]
	;; [unrolled: 1-line block ×3, first 2 shown]
	v_fma_f64 v[190:191], v[198:199], s[6:7], v[208:209]
	v_fma_f64 v[182:183], v[198:199], s[24:25], v[174:175]
	;; [unrolled: 1-line block ×3, first 2 shown]
	v_fma_f64 v[186:187], v[198:199], s[4:5], -v[204:205]
	v_fma_f64 v[204:205], v[198:199], s[20:21], -v[206:207]
	v_fma_f64 v[188:189], v[198:199], s[20:21], v[206:207]
	v_fma_f64 v[174:175], v[198:199], s[24:25], -v[174:175]
	v_fma_f64 v[192:193], v[198:199], s[16:17], v[210:211]
	v_fma_f64 v[194:195], v[198:199], s[12:13], v[178:179]
	v_fma_f64 v[178:179], v[198:199], s[12:13], -v[178:179]
	v_fma_f64 v[198:199], v[198:199], s[36:37], -v[200:201]
	v_add_f64 v[156:157], v[132:133], v[156:157]
	v_cmp_gt_u32_e64 s0, 48, v136
	v_add_f64 v[150:151], v[172:173], v[150:151]
	v_add_f64 v[158:159], v[176:177], v[158:159]
	;; [unrolled: 1-line block ×16, first 2 shown]
	v_mad_u32_u24 v198, 0x88, v136, 0
	ds_write2_b64 v198, v[156:157], v[150:151] offset1:1
	ds_write2_b64 v198, v[158:159], v[168:169] offset0:2 offset1:3
	ds_write2_b64 v198, v[162:163], v[170:171] offset0:4 offset1:5
	;; [unrolled: 1-line block ×7, first 2 shown]
	ds_write_b64 v198, v[152:153] offset:128
	s_and_saveexec_b32 s1, s0
	s_cbranch_execz .LBB0_15
; %bb.14:
	v_add_f64 v[194:195], v[4:5], v[24:25]
	v_add_f64 v[190:191], v[12:13], v[8:9]
	v_add_f64 v[192:193], v[26:27], -v[6:7]
	v_add_f64 v[188:189], v[36:37], v[28:29]
	v_add_f64 v[178:179], v[10:11], -v[14:15]
	;; [unrolled: 2-line block ×6, first 2 shown]
	v_add_f64 v[168:169], v[58:59], -v[66:67]
	v_add_f64 v[162:163], v[20:21], v[16:17]
	v_add_f64 v[166:167], v[18:19], -v[22:23]
	v_add_nc_u32_e32 v137, 0x1b18, v198
	v_mul_f64 v[199:200], v[194:195], s[36:37]
	v_mul_f64 v[164:165], v[190:191], s[10:11]
	;; [unrolled: 1-line block ×15, first 2 shown]
	v_fma_f64 v[201:202], v[192:193], s[54:55], v[199:200]
	v_fma_f64 v[196:197], v[178:179], s[40:41], v[164:165]
	v_fma_f64 v[205:206], v[192:193], s[50:51], v[203:204]
	v_fma_f64 v[160:161], v[176:177], s[50:51], v[158:159]
	v_fma_f64 v[209:210], v[192:193], s[52:53], v[207:208]
	v_fma_f64 v[156:157], v[174:175], s[42:43], v[154:155]
	v_fma_f64 v[213:214], v[192:193], s[48:49], v[211:212]
	v_fma_f64 v[152:153], v[172:173], s[52:53], v[150:151]
	v_fma_f64 v[217:218], v[192:193], s[38:39], v[215:216]
	v_fma_f64 v[148:149], v[170:171], s[46:47], v[146:147]
	v_fma_f64 v[221:222], v[192:193], s[26:27], v[219:220]
	v_fma_f64 v[142:143], v[168:169], s[48:49], v[144:145]
	v_fma_f64 v[225:226], v[192:193], s[30:31], v[223:224]
	v_fma_f64 v[140:141], v[166:167], s[44:45], v[112:113]
	v_fma_f64 v[112:113], v[166:167], s[38:39], v[112:113]
	v_add_f64 v[201:202], v[0:1], v[201:202]
	v_add_f64 v[205:206], v[0:1], v[205:206]
	;; [unrolled: 1-line block ×12, first 2 shown]
	v_fma_f64 v[152:153], v[178:179], s[28:29], v[164:165]
	v_mul_f64 v[164:165], v[188:189], s[12:13]
	v_add_f64 v[142:143], v[142:143], v[148:149]
	v_fma_f64 v[148:149], v[174:175], s[30:31], v[154:155]
	v_fma_f64 v[154:155], v[192:193], s[34:35], v[199:200]
	v_mul_f64 v[199:200], v[190:191], s[6:7]
	v_fma_f64 v[196:197], v[176:177], s[38:39], v[164:165]
	v_add_f64 v[142:143], v[140:141], v[142:143]
	v_fma_f64 v[140:141], v[168:169], s[14:15], v[144:145]
	v_add_f64 v[154:155], v[0:1], v[154:155]
	v_fma_f64 v[144:145], v[170:171], s[26:27], v[146:147]
	v_fma_f64 v[146:147], v[172:173], s[18:19], v[150:151]
	;; [unrolled: 1-line block ×4, first 2 shown]
	v_mul_f64 v[158:159], v[186:187], s[20:21]
	v_add_f64 v[152:153], v[152:153], v[154:155]
	v_mul_f64 v[154:155], v[184:185], s[10:11]
	v_add_f64 v[201:202], v[201:202], v[205:206]
	v_fma_f64 v[160:161], v[174:175], s[18:19], v[158:159]
	v_add_f64 v[150:151], v[150:151], v[152:153]
	v_fma_f64 v[156:157], v[172:173], s[28:29], v[154:155]
	v_add_f64 v[196:197], v[196:197], v[201:202]
	v_add_f64 v[148:149], v[148:149], v[150:151]
	v_mul_f64 v[150:151], v[182:183], s[36:37]
	v_add_f64 v[160:161], v[160:161], v[196:197]
	v_add_f64 v[146:147], v[146:147], v[148:149]
	v_fma_f64 v[152:153], v[170:171], s[54:55], v[150:151]
	v_add_f64 v[156:157], v[156:157], v[160:161]
	v_add_f64 v[144:145], v[144:145], v[146:147]
	;; [unrolled: 1-line block ×3, first 2 shown]
	v_fma_f64 v[156:157], v[178:179], s[26:27], v[199:200]
	v_mul_f64 v[199:200], v[188:189], s[10:11]
	v_add_f64 v[140:141], v[140:141], v[144:145]
	v_mul_f64 v[144:145], v[180:181], s[4:5]
	v_fma_f64 v[201:202], v[176:177], s[28:29], v[199:200]
	v_add_f64 v[146:147], v[112:113], v[140:141]
	v_fma_f64 v[148:149], v[168:169], s[42:43], v[144:145]
	v_mul_f64 v[140:141], v[162:163], s[16:17]
	v_fma_f64 v[144:145], v[168:169], s[30:31], v[144:145]
	v_add_f64 v[148:149], v[148:149], v[152:153]
	v_fma_f64 v[152:153], v[174:175], s[52:53], v[158:159]
	v_fma_f64 v[158:159], v[192:193], s[22:23], v[203:204]
	v_fma_f64 v[112:113], v[166:167], s[48:49], v[140:141]
	v_mul_f64 v[203:204], v[190:191], s[16:17]
	v_fma_f64 v[140:141], v[166:167], s[14:15], v[140:141]
	v_add_f64 v[158:159], v[0:1], v[158:159]
	v_add_f64 v[112:113], v[112:113], v[148:149]
	v_fma_f64 v[148:149], v[170:171], s[34:35], v[150:151]
	v_fma_f64 v[150:151], v[172:173], s[40:41], v[154:155]
	;; [unrolled: 1-line block ×4, first 2 shown]
	v_mul_f64 v[164:165], v[186:187], s[24:25]
	v_add_f64 v[156:157], v[156:157], v[158:159]
	v_mul_f64 v[158:159], v[184:185], s[12:13]
	v_add_f64 v[205:206], v[205:206], v[209:210]
	v_fma_f64 v[196:197], v[174:175], s[50:51], v[164:165]
	v_add_f64 v[154:155], v[154:155], v[156:157]
	v_fma_f64 v[160:161], v[172:173], s[44:45], v[158:159]
	v_add_f64 v[201:202], v[201:202], v[205:206]
	v_add_f64 v[152:153], v[152:153], v[154:155]
	v_mul_f64 v[154:155], v[182:183], s[4:5]
	v_add_f64 v[196:197], v[196:197], v[201:202]
	v_add_f64 v[150:151], v[150:151], v[152:153]
	v_fma_f64 v[156:157], v[170:171], s[30:31], v[154:155]
	v_add_f64 v[160:161], v[160:161], v[196:197]
	v_add_f64 v[148:149], v[148:149], v[150:151]
	;; [unrolled: 1-line block ×3, first 2 shown]
	v_fma_f64 v[160:161], v[178:179], s[48:49], v[203:204]
	v_mul_f64 v[203:204], v[188:189], s[4:5]
	v_add_f64 v[144:145], v[144:145], v[148:149]
	v_mul_f64 v[148:149], v[180:181], s[36:37]
	v_fma_f64 v[205:206], v[176:177], s[42:43], v[203:204]
	v_add_f64 v[150:151], v[140:141], v[144:145]
	v_fma_f64 v[152:153], v[168:169], s[54:55], v[148:149]
	v_mul_f64 v[140:141], v[162:163], s[6:7]
	v_fma_f64 v[148:149], v[168:169], s[34:35], v[148:149]
	v_add_f64 v[152:153], v[152:153], v[156:157]
	v_fma_f64 v[156:157], v[174:175], s[22:23], v[164:165]
	v_fma_f64 v[164:165], v[192:193], s[18:19], v[207:208]
	;; [unrolled: 1-line block ×3, first 2 shown]
	v_mul_f64 v[207:208], v[190:191], s[24:25]
	v_fma_f64 v[140:141], v[166:167], s[26:27], v[140:141]
	v_add_f64 v[164:165], v[0:1], v[164:165]
	v_add_f64 v[144:145], v[144:145], v[152:153]
	v_fma_f64 v[152:153], v[170:171], s[42:43], v[154:155]
	v_fma_f64 v[154:155], v[172:173], s[38:39], v[158:159]
	;; [unrolled: 1-line block ×4, first 2 shown]
	v_mul_f64 v[199:200], v[186:187], s[6:7]
	v_add_f64 v[160:161], v[160:161], v[164:165]
	v_mul_f64 v[164:165], v[184:185], s[36:37]
	v_add_f64 v[209:210], v[209:210], v[213:214]
	v_fma_f64 v[201:202], v[174:175], s[26:27], v[199:200]
	v_add_f64 v[158:159], v[158:159], v[160:161]
	v_fma_f64 v[196:197], v[172:173], s[54:55], v[164:165]
	v_add_f64 v[205:206], v[205:206], v[209:210]
	v_add_f64 v[156:157], v[156:157], v[158:159]
	v_mul_f64 v[158:159], v[182:183], s[12:13]
	v_add_f64 v[201:202], v[201:202], v[205:206]
	v_add_f64 v[154:155], v[154:155], v[156:157]
	v_fma_f64 v[160:161], v[170:171], s[44:45], v[158:159]
	v_add_f64 v[196:197], v[196:197], v[201:202]
	v_add_f64 v[152:153], v[152:153], v[154:155]
	v_mul_f64 v[154:155], v[180:181], s[10:11]
	v_add_f64 v[160:161], v[160:161], v[196:197]
	v_fma_f64 v[196:197], v[178:179], s[50:51], v[207:208]
	v_mul_f64 v[207:208], v[188:189], s[16:17]
	v_add_f64 v[148:149], v[148:149], v[152:153]
	v_fma_f64 v[156:157], v[168:169], s[28:29], v[154:155]
	v_fma_f64 v[154:155], v[168:169], s[40:41], v[154:155]
	;; [unrolled: 1-line block ×3, first 2 shown]
	v_add_f64 v[152:153], v[140:141], v[148:149]
	v_mul_f64 v[148:149], v[162:163], s[20:21]
	v_add_f64 v[156:157], v[156:157], v[160:161]
	v_fma_f64 v[160:161], v[174:175], s[46:47], v[199:200]
	v_fma_f64 v[199:200], v[192:193], s[14:15], v[211:212]
	v_mul_f64 v[211:212], v[190:191], s[36:37]
	v_fma_f64 v[140:141], v[166:167], s[52:53], v[148:149]
	v_fma_f64 v[148:149], v[166:167], s[18:19], v[148:149]
	v_add_f64 v[199:200], v[0:1], v[199:200]
	v_fma_f64 v[213:214], v[178:179], s[54:55], v[211:212]
	v_add_f64 v[140:141], v[140:141], v[156:157]
	v_fma_f64 v[156:157], v[170:171], s[38:39], v[158:159]
	v_fma_f64 v[158:159], v[172:173], s[34:35], v[164:165]
	;; [unrolled: 1-line block ×3, first 2 shown]
	v_add_f64 v[196:197], v[196:197], v[199:200]
	v_mul_f64 v[203:204], v[186:187], s[10:11]
	v_add_f64 v[213:214], v[213:214], v[217:218]
	v_mul_f64 v[199:200], v[184:185], s[6:7]
	v_add_f64 v[164:165], v[164:165], v[196:197]
	v_fma_f64 v[205:206], v[174:175], s[40:41], v[203:204]
	v_add_f64 v[209:210], v[209:210], v[213:214]
	v_fma_f64 v[201:202], v[172:173], s[26:27], v[199:200]
	v_add_f64 v[160:161], v[160:161], v[164:165]
	v_mul_f64 v[164:165], v[182:183], s[24:25]
	v_add_f64 v[205:206], v[205:206], v[209:210]
	v_add_f64 v[158:159], v[158:159], v[160:161]
	v_fma_f64 v[196:197], v[170:171], s[50:51], v[164:165]
	v_add_f64 v[201:202], v[201:202], v[205:206]
	v_add_f64 v[156:157], v[156:157], v[158:159]
	v_mul_f64 v[158:159], v[180:181], s[20:21]
	v_add_f64 v[196:197], v[196:197], v[201:202]
	v_fma_f64 v[201:202], v[178:179], s[34:35], v[211:212]
	v_mul_f64 v[211:212], v[188:189], s[36:37]
	v_add_f64 v[154:155], v[154:155], v[156:157]
	v_fma_f64 v[160:161], v[168:169], s[18:19], v[158:159]
	v_mul_f64 v[156:157], v[162:163], s[4:5]
	v_fma_f64 v[158:159], v[168:169], s[52:53], v[158:159]
	v_fma_f64 v[213:214], v[176:177], s[34:35], v[211:212]
	v_add_f64 v[154:155], v[148:149], v[154:155]
	v_add_f64 v[160:161], v[160:161], v[196:197]
	v_fma_f64 v[196:197], v[174:175], s[28:29], v[203:204]
	v_fma_f64 v[203:204], v[192:193], s[44:45], v[215:216]
	;; [unrolled: 1-line block ×3, first 2 shown]
	v_mul_f64 v[215:216], v[190:191], s[20:21]
	v_fma_f64 v[156:157], v[166:167], s[30:31], v[156:157]
	v_add_f64 v[203:204], v[0:1], v[203:204]
	v_add_f64 v[148:149], v[148:149], v[160:161]
	v_fma_f64 v[160:161], v[170:171], s[22:23], v[164:165]
	v_fma_f64 v[164:165], v[172:173], s[46:47], v[199:200]
	;; [unrolled: 1-line block ×4, first 2 shown]
	v_mul_f64 v[207:208], v[186:187], s[16:17]
	v_add_f64 v[201:202], v[201:202], v[203:204]
	v_mul_f64 v[203:204], v[184:185], s[4:5]
	v_add_f64 v[217:218], v[217:218], v[221:222]
	v_fma_f64 v[209:210], v[174:175], s[14:15], v[207:208]
	v_add_f64 v[199:200], v[199:200], v[201:202]
	v_fma_f64 v[205:206], v[172:173], s[42:43], v[203:204]
	v_add_f64 v[213:214], v[213:214], v[217:218]
	v_add_f64 v[196:197], v[196:197], v[199:200]
	v_mul_f64 v[199:200], v[182:183], s[10:11]
	v_add_f64 v[209:210], v[209:210], v[213:214]
	v_add_f64 v[164:165], v[164:165], v[196:197]
	v_fma_f64 v[201:202], v[170:171], s[28:29], v[199:200]
	v_add_f64 v[205:206], v[205:206], v[209:210]
	v_add_f64 v[160:161], v[160:161], v[164:165]
	v_mul_f64 v[164:165], v[180:181], s[12:13]
	v_add_f64 v[201:202], v[201:202], v[205:206]
	v_fma_f64 v[205:206], v[178:179], s[18:19], v[215:216]
	v_mul_f64 v[215:216], v[188:189], s[20:21]
	v_mul_f64 v[188:189], v[188:189], s[6:7]
	v_add_f64 v[158:159], v[158:159], v[160:161]
	v_fma_f64 v[196:197], v[168:169], s[38:39], v[164:165]
	v_mul_f64 v[160:161], v[162:163], s[24:25]
	v_fma_f64 v[164:165], v[168:169], s[44:45], v[164:165]
	v_fma_f64 v[217:218], v[176:177], s[52:53], v[215:216]
	v_add_f64 v[156:157], v[156:157], v[158:159]
	v_add_f64 v[196:197], v[196:197], v[201:202]
	v_fma_f64 v[201:202], v[174:175], s[48:49], v[207:208]
	v_fma_f64 v[207:208], v[192:193], s[46:47], v[219:220]
	;; [unrolled: 1-line block ×3, first 2 shown]
	v_mul_f64 v[219:220], v[190:191], s[12:13]
	v_fma_f64 v[160:161], v[166:167], s[22:23], v[160:161]
	v_mul_f64 v[190:191], v[190:191], s[4:5]
	v_add_f64 v[207:208], v[0:1], v[207:208]
	v_add_f64 v[158:159], v[158:159], v[196:197]
	v_fma_f64 v[196:197], v[170:171], s[40:41], v[199:200]
	v_fma_f64 v[199:200], v[172:173], s[30:31], v[203:204]
	;; [unrolled: 1-line block ×4, first 2 shown]
	v_mul_f64 v[211:212], v[186:187], s[36:37]
	v_mul_f64 v[186:187], v[186:187], s[12:13]
	v_add_f64 v[205:206], v[205:206], v[207:208]
	v_mul_f64 v[207:208], v[184:185], s[24:25]
	v_mul_f64 v[184:185], v[184:185], s[16:17]
	v_add_f64 v[221:222], v[221:222], v[225:226]
	v_fma_f64 v[213:214], v[174:175], s[54:55], v[211:212]
	v_add_f64 v[203:204], v[203:204], v[205:206]
	v_fma_f64 v[209:210], v[172:173], s[22:23], v[207:208]
	v_add_f64 v[217:218], v[217:218], v[221:222]
	v_add_f64 v[201:202], v[201:202], v[203:204]
	v_mul_f64 v[203:204], v[182:183], s[16:17]
	v_mul_f64 v[182:183], v[182:183], s[20:21]
	v_add_f64 v[213:214], v[213:214], v[217:218]
	v_add_f64 v[199:200], v[199:200], v[201:202]
	v_fma_f64 v[205:206], v[170:171], s[14:15], v[203:204]
	v_add_f64 v[209:210], v[209:210], v[213:214]
	v_fma_f64 v[213:214], v[192:193], s[28:29], v[194:195]
	v_add_f64 v[196:197], v[196:197], v[199:200]
	v_mul_f64 v[199:200], v[180:181], s[6:7]
	v_mul_f64 v[180:181], v[180:181], s[24:25]
	v_add_f64 v[205:206], v[205:206], v[209:210]
	v_fma_f64 v[209:210], v[178:179], s[44:45], v[219:220]
	v_add_f64 v[213:214], v[0:1], v[213:214]
	v_add_f64 v[164:165], v[164:165], v[196:197]
	v_fma_f64 v[201:202], v[168:169], s[46:47], v[199:200]
	v_mul_f64 v[196:197], v[162:163], s[10:11]
	v_fma_f64 v[199:200], v[168:169], s[26:27], v[199:200]
	v_add_f64 v[164:165], v[160:161], v[164:165]
	v_add_f64 v[201:202], v[201:202], v[205:206]
	v_fma_f64 v[205:206], v[174:175], s[34:35], v[211:212]
	v_fma_f64 v[211:212], v[192:193], s[42:43], v[223:224]
	;; [unrolled: 1-line block ×4, first 2 shown]
	v_add_f64 v[211:212], v[0:1], v[211:212]
	v_add_f64 v[160:161], v[160:161], v[201:202]
	v_fma_f64 v[201:202], v[170:171], s[48:49], v[203:204]
	v_fma_f64 v[203:204], v[172:173], s[50:51], v[207:208]
	;; [unrolled: 1-line block ×3, first 2 shown]
	v_add_f64 v[209:210], v[209:210], v[211:212]
	v_fma_f64 v[211:212], v[178:179], s[30:31], v[190:191]
	v_fma_f64 v[178:179], v[178:179], s[42:43], v[190:191]
	v_add_f64 v[207:208], v[207:208], v[209:210]
	v_fma_f64 v[209:210], v[176:177], s[26:27], v[188:189]
	v_fma_f64 v[176:177], v[176:177], s[46:47], v[188:189]
	v_add_f64 v[211:212], v[211:212], v[213:214]
	v_add_f64 v[205:206], v[205:206], v[207:208]
	v_fma_f64 v[207:208], v[174:175], s[38:39], v[186:187]
	v_fma_f64 v[174:175], v[174:175], s[44:45], v[186:187]
	v_add_f64 v[209:210], v[209:210], v[211:212]
	;; [unrolled: 4-line block ×4, first 2 shown]
	v_add_f64 v[199:200], v[199:200], v[201:202]
	v_fma_f64 v[201:202], v[168:169], s[50:51], v[180:181]
	v_fma_f64 v[168:169], v[168:169], s[22:23], v[180:181]
	;; [unrolled: 1-line block ×3, first 2 shown]
	v_add_f64 v[203:204], v[203:204], v[205:206]
	v_add_f64 v[196:197], v[196:197], v[199:200]
	v_mul_f64 v[199:200], v[162:163], s[36:37]
	v_add_f64 v[180:181], v[0:1], v[180:181]
	v_add_f64 v[0:1], v[24:25], v[0:1]
	;; [unrolled: 1-line block ×3, first 2 shown]
	v_fma_f64 v[162:163], v[166:167], s[54:55], v[199:200]
	v_fma_f64 v[166:167], v[166:167], s[34:35], v[199:200]
	v_add_f64 v[178:179], v[178:179], v[180:181]
	v_add_f64 v[0:1], v[8:9], v[0:1]
	;; [unrolled: 1-line block ×23, first 2 shown]
	ds_write2_b64 v137, v[0:1], v[166:167] offset1:1
	v_add_nc_u32_e32 v0, 0x1b28, v198
	ds_write2_b64 v0, v[196:197], v[164:165] offset1:1
	v_add_nc_u32_e32 v0, 0x1b38, v198
	;; [unrolled: 2-line block ×7, first 2 shown]
	ds_write2_b64 v0, v[158:159], v[160:161] offset1:1
	ds_write_b64 v198, v[162:163] offset:7064
.LBB0_15:
	s_or_b32 exec_lo, exec_lo, s1
	v_add_f64 v[0:1], v[122:123], v[114:115]
	v_add_f64 v[120:121], v[120:121], -v[132:133]
	v_add_f64 v[112:113], v[134:135], v[122:123]
	v_add_f64 v[108:109], v[108:109], -v[128:129]
	v_add_f64 v[100:101], v[100:101], -v[124:125]
	;; [unrolled: 1-line block ×6, first 2 shown]
	s_waitcnt lgkmcnt(0)
	s_barrier
	buffer_gl0_inv
	v_add_nc_u32_e32 v137, 51, v136
	v_add_f64 v[0:1], v[110:111], v[0:1]
	v_mul_f64 v[122:123], v[120:121], s[40:41]
	v_mul_f64 v[142:143], v[120:121], s[46:47]
	;; [unrolled: 1-line block ×6, first 2 shown]
	v_add_f64 v[110:111], v[130:131], v[110:111]
	v_mul_f64 v[72:73], v[68:69], s[34:35]
	v_add_f64 v[0:1], v[102:103], v[0:1]
	v_fma_f64 v[132:133], v[112:113], s[10:11], -v[122:123]
	v_fma_f64 v[122:123], v[112:113], s[10:11], v[122:123]
	v_fma_f64 v[144:145], v[112:113], s[6:7], -v[142:143]
	v_fma_f64 v[142:143], v[112:113], s[6:7], v[142:143]
	;; [unrolled: 2-line block ×6, first 2 shown]
	v_add_f64 v[102:103], v[126:127], v[102:103]
	v_add_f64 v[0:1], v[98:99], v[0:1]
	v_add_f64 v[132:133], v[114:115], v[132:133]
	v_add_f64 v[122:123], v[114:115], v[122:123]
	v_add_f64 v[144:145], v[114:115], v[144:145]
	v_add_f64 v[142:143], v[114:115], v[142:143]
	v_add_f64 v[148:149], v[114:115], v[148:149]
	v_add_f64 v[146:147], v[114:115], v[146:147]
	v_add_f64 v[152:153], v[114:115], v[152:153]
	v_add_f64 v[150:151], v[114:115], v[150:151]
	v_add_f64 v[156:157], v[114:115], v[156:157]
	v_add_f64 v[154:155], v[114:115], v[154:155]
	v_add_f64 v[160:161], v[114:115], v[160:161]
	v_add_f64 v[158:159], v[114:115], v[158:159]
	v_add_f64 v[98:99], v[118:119], v[98:99]
	v_add_f64 v[0:1], v[90:91], v[0:1]
	v_add_f64 v[90:91], v[106:107], v[90:91]
	v_add_f64 v[0:1], v[82:83], v[0:1]
	v_add_f64 v[82:83], v[94:95], v[82:83]
	v_add_f64 v[0:1], v[78:79], v[0:1]
	v_add_f64 v[0:1], v[70:71], v[0:1]
	v_add_f64 v[70:71], v[74:75], v[70:71]
	v_add_f64 v[0:1], v[74:75], v[0:1]
	v_fma_f64 v[74:75], v[70:71], s[36:37], -v[72:73]
	v_fma_f64 v[72:73], v[70:71], s[36:37], v[72:73]
	v_add_f64 v[0:1], v[86:87], v[0:1]
	v_add_f64 v[0:1], v[94:95], v[0:1]
	v_mul_f64 v[94:95], v[80:81], s[48:49]
	v_add_f64 v[0:1], v[106:107], v[0:1]
	v_mul_f64 v[106:107], v[88:89], s[30:31]
	;; [unrolled: 2-line block ×6, first 2 shown]
	v_mul_f64 v[120:121], v[120:121], s[34:35]
	v_fma_f64 v[140:141], v[112:113], s[4:5], -v[134:135]
	v_fma_f64 v[134:135], v[112:113], s[4:5], v[134:135]
	v_fma_f64 v[162:163], v[112:113], s[36:37], -v[120:121]
	v_fma_f64 v[112:113], v[112:113], s[36:37], v[120:121]
	v_add_f64 v[140:141], v[114:115], v[140:141]
	v_add_f64 v[134:135], v[114:115], v[134:135]
	;; [unrolled: 1-line block ×4, first 2 shown]
	v_mul_f64 v[114:115], v[108:109], s[42:43]
	v_fma_f64 v[120:121], v[110:111], s[4:5], -v[114:115]
	v_fma_f64 v[114:115], v[110:111], s[4:5], v[114:115]
	v_add_f64 v[120:121], v[120:121], v[132:133]
	v_add_f64 v[114:115], v[114:115], v[122:123]
	v_mul_f64 v[122:123], v[108:109], s[44:45]
	v_fma_f64 v[132:133], v[110:111], s[20:21], -v[130:131]
	v_fma_f64 v[130:131], v[110:111], s[20:21], v[130:131]
	v_fma_f64 v[128:129], v[110:111], s[12:13], -v[122:123]
	v_fma_f64 v[122:123], v[110:111], s[12:13], v[122:123]
	v_add_f64 v[130:131], v[130:131], v[142:143]
	v_mul_f64 v[142:143], v[108:109], s[50:51]
	v_add_f64 v[132:133], v[132:133], v[144:145]
	v_add_f64 v[128:129], v[128:129], v[140:141]
	;; [unrolled: 1-line block ×3, first 2 shown]
	v_mul_f64 v[134:135], v[108:109], s[34:35]
	v_fma_f64 v[144:145], v[110:111], s[24:25], -v[142:143]
	v_fma_f64 v[142:143], v[110:111], s[24:25], v[142:143]
	v_fma_f64 v[140:141], v[110:111], s[36:37], -v[134:135]
	v_fma_f64 v[134:135], v[110:111], s[36:37], v[134:135]
	v_add_f64 v[142:143], v[142:143], v[150:151]
	v_mul_f64 v[150:151], v[108:109], s[26:27]
	v_add_f64 v[144:145], v[144:145], v[152:153]
	v_add_f64 v[140:141], v[140:141], v[148:149]
	;; [unrolled: 1-line block ×3, first 2 shown]
	v_mul_f64 v[146:147], v[108:109], s[48:49]
	v_mul_f64 v[108:109], v[108:109], s[28:29]
	v_fma_f64 v[152:153], v[110:111], s[6:7], -v[150:151]
	v_fma_f64 v[150:151], v[110:111], s[6:7], v[150:151]
	v_fma_f64 v[148:149], v[110:111], s[16:17], -v[146:147]
	v_fma_f64 v[146:147], v[110:111], s[16:17], v[146:147]
	v_add_f64 v[152:153], v[152:153], v[160:161]
	v_add_f64 v[150:151], v[150:151], v[158:159]
	;; [unrolled: 1-line block ×4, first 2 shown]
	v_fma_f64 v[154:155], v[110:111], s[10:11], -v[108:109]
	v_fma_f64 v[108:109], v[110:111], s[10:11], v[108:109]
	v_mul_f64 v[110:111], v[100:101], s[46:47]
	v_add_f64 v[154:155], v[154:155], v[162:163]
	v_add_f64 v[108:109], v[108:109], v[112:113]
	v_fma_f64 v[112:113], v[102:103], s[6:7], -v[110:111]
	v_fma_f64 v[110:111], v[102:103], s[6:7], v[110:111]
	v_add_f64 v[112:113], v[112:113], v[120:121]
	v_add_f64 v[110:111], v[110:111], v[114:115]
	v_mul_f64 v[114:115], v[100:101], s[18:19]
	v_fma_f64 v[120:121], v[102:103], s[20:21], -v[114:115]
	v_fma_f64 v[114:115], v[102:103], s[20:21], v[114:115]
	v_add_f64 v[120:121], v[120:121], v[128:129]
	v_add_f64 v[114:115], v[114:115], v[122:123]
	v_mul_f64 v[122:123], v[100:101], s[54:55]
	v_fma_f64 v[128:129], v[102:103], s[16:17], -v[126:127]
	v_fma_f64 v[126:127], v[102:103], s[16:17], v[126:127]
	v_fma_f64 v[124:125], v[102:103], s[36:37], -v[122:123]
	v_fma_f64 v[122:123], v[102:103], s[36:37], v[122:123]
	v_add_f64 v[126:127], v[126:127], v[134:135]
	v_mul_f64 v[134:135], v[100:101], s[40:41]
	v_add_f64 v[128:129], v[128:129], v[140:141]
	v_add_f64 v[124:125], v[124:125], v[132:133]
	;; [unrolled: 1-line block ×3, first 2 shown]
	v_mul_f64 v[130:131], v[100:101], s[30:31]
	v_fma_f64 v[140:141], v[102:103], s[10:11], -v[134:135]
	v_fma_f64 v[134:135], v[102:103], s[10:11], v[134:135]
	v_fma_f64 v[132:133], v[102:103], s[4:5], -v[130:131]
	v_fma_f64 v[130:131], v[102:103], s[4:5], v[130:131]
	v_add_f64 v[134:135], v[134:135], v[146:147]
	v_add_f64 v[140:141], v[140:141], v[148:149]
	;; [unrolled: 1-line block ×4, first 2 shown]
	v_mul_f64 v[142:143], v[100:101], s[44:45]
	v_mul_f64 v[100:101], v[100:101], s[22:23]
	v_fma_f64 v[144:145], v[102:103], s[12:13], -v[142:143]
	v_fma_f64 v[142:143], v[102:103], s[12:13], v[142:143]
	v_fma_f64 v[146:147], v[102:103], s[24:25], -v[100:101]
	v_fma_f64 v[100:101], v[102:103], s[24:25], v[100:101]
	v_mul_f64 v[102:103], v[96:97], s[44:45]
	v_add_f64 v[144:145], v[144:145], v[152:153]
	v_add_f64 v[142:143], v[142:143], v[150:151]
	;; [unrolled: 1-line block ×4, first 2 shown]
	v_fma_f64 v[108:109], v[98:99], s[12:13], -v[102:103]
	v_fma_f64 v[102:103], v[98:99], s[12:13], v[102:103]
	v_add_f64 v[108:109], v[108:109], v[112:113]
	v_add_f64 v[102:103], v[102:103], v[110:111]
	v_mul_f64 v[110:111], v[96:97], s[34:35]
	v_fma_f64 v[112:113], v[98:99], s[36:37], -v[110:111]
	v_fma_f64 v[110:111], v[98:99], s[36:37], v[110:111]
	v_add_f64 v[112:113], v[112:113], v[120:121]
	v_add_f64 v[110:111], v[110:111], v[114:115]
	v_mul_f64 v[114:115], v[96:97], s[48:49]
	v_fma_f64 v[120:121], v[98:99], s[10:11], -v[118:119]
	v_fma_f64 v[118:119], v[98:99], s[10:11], v[118:119]
	v_fma_f64 v[116:117], v[98:99], s[16:17], -v[114:115]
	v_fma_f64 v[114:115], v[98:99], s[16:17], v[114:115]
	v_add_f64 v[118:119], v[118:119], v[126:127]
	v_mul_f64 v[126:127], v[96:97], s[22:23]
	v_add_f64 v[120:121], v[120:121], v[128:129]
	v_add_f64 v[116:117], v[116:117], v[124:125]
	;; [unrolled: 1-line block ×3, first 2 shown]
	v_mul_f64 v[122:123], v[96:97], s[46:47]
	v_fma_f64 v[128:129], v[98:99], s[24:25], -v[126:127]
	v_fma_f64 v[126:127], v[98:99], s[24:25], v[126:127]
	v_fma_f64 v[124:125], v[98:99], s[6:7], -v[122:123]
	v_fma_f64 v[122:123], v[98:99], s[6:7], v[122:123]
	v_add_f64 v[126:127], v[126:127], v[134:135]
	v_add_f64 v[128:129], v[128:129], v[140:141]
	;; [unrolled: 1-line block ×4, first 2 shown]
	v_mul_f64 v[130:131], v[96:97], s[52:53]
	v_mul_f64 v[96:97], v[96:97], s[30:31]
	v_fma_f64 v[132:133], v[98:99], s[20:21], -v[130:131]
	v_fma_f64 v[130:131], v[98:99], s[20:21], v[130:131]
	v_fma_f64 v[134:135], v[98:99], s[4:5], -v[96:97]
	v_fma_f64 v[96:97], v[98:99], s[4:5], v[96:97]
	v_mul_f64 v[98:99], v[88:89], s[14:15]
	v_add_f64 v[132:133], v[132:133], v[144:145]
	v_add_f64 v[130:131], v[130:131], v[142:143]
	;; [unrolled: 1-line block ×4, first 2 shown]
	v_fma_f64 v[100:101], v[90:91], s[16:17], -v[98:99]
	v_fma_f64 v[98:99], v[90:91], s[16:17], v[98:99]
	v_add_f64 v[100:101], v[100:101], v[108:109]
	v_add_f64 v[98:99], v[98:99], v[102:103]
	v_mul_f64 v[102:103], v[88:89], s[50:51]
	v_fma_f64 v[108:109], v[90:91], s[4:5], -v[106:107]
	v_fma_f64 v[106:107], v[90:91], s[4:5], v[106:107]
	v_fma_f64 v[104:105], v[90:91], s[24:25], -v[102:103]
	v_fma_f64 v[102:103], v[90:91], s[24:25], v[102:103]
	v_add_f64 v[106:107], v[106:107], v[114:115]
	v_mul_f64 v[114:115], v[88:89], s[34:35]
	v_add_f64 v[108:109], v[108:109], v[116:117]
	v_add_f64 v[104:105], v[104:105], v[112:113]
	;; [unrolled: 1-line block ×3, first 2 shown]
	v_mul_f64 v[110:111], v[88:89], s[46:47]
	v_fma_f64 v[116:117], v[90:91], s[36:37], -v[114:115]
	v_fma_f64 v[114:115], v[90:91], s[36:37], v[114:115]
	v_fma_f64 v[112:113], v[90:91], s[6:7], -v[110:111]
	v_fma_f64 v[110:111], v[90:91], s[6:7], v[110:111]
	v_add_f64 v[114:115], v[114:115], v[122:123]
	v_mul_f64 v[122:123], v[88:89], s[40:41]
	v_add_f64 v[116:117], v[116:117], v[124:125]
	v_add_f64 v[112:113], v[112:113], v[120:121]
	;; [unrolled: 1-line block ×3, first 2 shown]
	v_mul_f64 v[118:119], v[88:89], s[38:39]
	v_mul_f64 v[88:89], v[88:89], s[18:19]
	v_fma_f64 v[124:125], v[90:91], s[10:11], -v[122:123]
	v_fma_f64 v[122:123], v[90:91], s[10:11], v[122:123]
	v_fma_f64 v[120:121], v[90:91], s[12:13], -v[118:119]
	v_fma_f64 v[118:119], v[90:91], s[12:13], v[118:119]
	v_add_f64 v[124:125], v[124:125], v[132:133]
	v_add_f64 v[132:133], v[76:77], -v[84:85]
	v_add_f64 v[122:123], v[122:123], v[130:131]
	v_add_f64 v[130:131], v[86:87], v[78:79]
	v_add_f64 v[120:121], v[120:121], v[128:129]
	v_add_f64 v[118:119], v[118:119], v[126:127]
	v_fma_f64 v[126:127], v[90:91], s[20:21], -v[88:89]
	v_fma_f64 v[88:89], v[90:91], s[20:21], v[88:89]
	v_mul_f64 v[90:91], v[80:81], s[18:19]
	v_mul_f64 v[76:77], v[132:133], s[22:23]
	;; [unrolled: 1-line block ×3, first 2 shown]
	v_add_f64 v[126:127], v[126:127], v[134:135]
	v_add_f64 v[88:89], v[88:89], v[96:97]
	v_fma_f64 v[92:93], v[82:83], s[20:21], -v[90:91]
	v_fma_f64 v[90:91], v[82:83], s[20:21], v[90:91]
	v_fma_f64 v[96:97], v[82:83], s[16:17], -v[94:95]
	v_fma_f64 v[94:95], v[82:83], s[16:17], v[94:95]
	v_fma_f64 v[78:79], v[130:131], s[24:25], -v[76:77]
	v_fma_f64 v[76:77], v[130:131], s[24:25], v[76:77]
	v_fma_f64 v[84:85], v[130:131], s[10:11], -v[86:87]
	v_fma_f64 v[86:87], v[130:131], s[10:11], v[86:87]
	v_add_f64 v[92:93], v[92:93], v[100:101]
	v_add_f64 v[90:91], v[90:91], v[98:99]
	v_mul_f64 v[98:99], v[80:81], s[40:41]
	v_add_f64 v[94:95], v[94:95], v[102:103]
	v_add_f64 v[96:97], v[96:97], v[104:105]
	;; [unrolled: 1-line block ×3, first 2 shown]
	v_fma_f64 v[100:101], v[82:83], s[10:11], -v[98:99]
	v_fma_f64 v[98:99], v[82:83], s[10:11], v[98:99]
	v_add_f64 v[152:153], v[74:75], v[104:105]
	v_add_f64 v[108:109], v[100:101], v[108:109]
	v_mul_f64 v[100:101], v[80:81], s[22:23]
	v_add_f64 v[98:99], v[98:99], v[106:107]
	v_add_f64 v[106:107], v[76:77], v[90:91]
	v_mul_f64 v[76:77], v[132:133], s[26:27]
	v_mul_f64 v[90:91], v[132:133], s[34:35]
	v_fma_f64 v[102:103], v[82:83], s[24:25], -v[100:101]
	v_fma_f64 v[100:101], v[82:83], s[24:25], v[100:101]
	v_add_f64 v[134:135], v[72:73], v[106:107]
	v_fma_f64 v[78:79], v[130:131], s[6:7], -v[76:77]
	v_fma_f64 v[76:77], v[130:131], s[6:7], v[76:77]
	v_mul_f64 v[72:73], v[68:69], s[28:29]
	v_add_f64 v[112:113], v[102:103], v[112:113]
	v_add_f64 v[110:111], v[100:101], v[110:111]
	v_mul_f64 v[100:101], v[80:81], s[38:39]
	v_fma_f64 v[74:75], v[70:71], s[10:11], -v[72:73]
	v_fma_f64 v[72:73], v[70:71], s[10:11], v[72:73]
	v_fma_f64 v[102:103], v[82:83], s[12:13], -v[100:101]
	v_fma_f64 v[100:101], v[82:83], s[12:13], v[100:101]
	v_add_f64 v[116:117], v[102:103], v[116:117]
	v_add_f64 v[114:115], v[100:101], v[114:115]
	v_mul_f64 v[100:101], v[80:81], s[42:43]
	v_add_f64 v[84:85], v[84:85], v[116:117]
	v_add_f64 v[86:87], v[86:87], v[114:115]
	v_fma_f64 v[102:103], v[82:83], s[4:5], -v[100:101]
	v_fma_f64 v[100:101], v[82:83], s[4:5], v[100:101]
	v_add_f64 v[120:121], v[102:103], v[120:121]
	v_add_f64 v[118:119], v[100:101], v[118:119]
	v_mul_f64 v[100:101], v[80:81], s[34:35]
	v_mul_f64 v[80:81], v[80:81], s[26:27]
	v_fma_f64 v[102:103], v[82:83], s[36:37], -v[100:101]
	v_fma_f64 v[100:101], v[82:83], s[36:37], v[100:101]
	v_add_f64 v[124:125], v[102:103], v[124:125]
	v_add_f64 v[122:123], v[100:101], v[122:123]
	v_fma_f64 v[100:101], v[82:83], s[6:7], -v[80:81]
	v_add_f64 v[102:103], v[76:77], v[94:95]
	v_fma_f64 v[80:81], v[82:83], s[6:7], v[80:81]
	v_mul_f64 v[82:83], v[132:133], s[52:53]
	v_mul_f64 v[94:95], v[132:133], s[30:31]
	v_add_f64 v[126:127], v[100:101], v[126:127]
	v_add_f64 v[100:101], v[78:79], v[96:97]
	v_mul_f64 v[78:79], v[132:133], s[44:45]
	v_add_f64 v[140:141], v[72:73], v[102:103]
	v_mul_f64 v[72:73], v[68:69], s[22:23]
	v_add_f64 v[128:129], v[80:81], v[88:89]
	v_fma_f64 v[80:81], v[130:131], s[20:21], -v[82:83]
	v_fma_f64 v[82:83], v[130:131], s[20:21], v[82:83]
	v_fma_f64 v[88:89], v[130:131], s[36:37], -v[90:91]
	v_fma_f64 v[90:91], v[130:131], s[36:37], v[90:91]
	;; [unrolled: 2-line block ×3, first 2 shown]
	v_add_f64 v[166:167], v[74:75], v[100:101]
	v_fma_f64 v[76:77], v[130:131], s[12:13], -v[78:79]
	v_fma_f64 v[78:79], v[130:131], s[12:13], v[78:79]
	v_fma_f64 v[74:75], v[70:71], s[24:25], -v[72:73]
	v_fma_f64 v[72:73], v[70:71], s[24:25], v[72:73]
	v_add_f64 v[80:81], v[80:81], v[112:113]
	v_add_f64 v[82:83], v[82:83], v[110:111]
	;; [unrolled: 1-line block ×8, first 2 shown]
	v_mul_f64 v[98:99], v[132:133], s[14:15]
	v_add_f64 v[168:169], v[74:75], v[76:77]
	v_add_f64 v[142:143], v[72:73], v[78:79]
	v_mul_f64 v[72:73], v[68:69], s[30:31]
	v_fma_f64 v[96:97], v[130:131], s[16:17], -v[98:99]
	v_fma_f64 v[98:99], v[130:131], s[16:17], v[98:99]
	v_fma_f64 v[74:75], v[70:71], s[4:5], -v[72:73]
	v_fma_f64 v[72:73], v[70:71], s[4:5], v[72:73]
	v_add_f64 v[98:99], v[98:99], v[128:129]
	v_add_f64 v[96:97], v[96:97], v[126:127]
	;; [unrolled: 1-line block ×4, first 2 shown]
	v_mul_f64 v[72:73], v[68:69], s[18:19]
	v_fma_f64 v[74:75], v[70:71], s[20:21], -v[72:73]
	v_fma_f64 v[72:73], v[70:71], s[20:21], v[72:73]
	v_add_f64 v[164:165], v[74:75], v[84:85]
	v_add_f64 v[146:147], v[72:73], v[86:87]
	v_mul_f64 v[72:73], v[68:69], s[26:27]
	v_fma_f64 v[74:75], v[70:71], s[6:7], -v[72:73]
	v_fma_f64 v[72:73], v[70:71], s[6:7], v[72:73]
	v_add_f64 v[158:159], v[74:75], v[88:89]
	v_add_f64 v[148:149], v[72:73], v[90:91]
	v_mul_f64 v[72:73], v[68:69], s[14:15]
	v_mul_f64 v[68:69], v[68:69], s[38:39]
	v_fma_f64 v[74:75], v[70:71], s[16:17], -v[72:73]
	v_fma_f64 v[72:73], v[70:71], s[16:17], v[72:73]
	v_add_f64 v[160:161], v[74:75], v[92:93]
	v_add_f64 v[150:151], v[72:73], v[94:95]
	v_fma_f64 v[72:73], v[70:71], s[12:13], -v[68:69]
	v_fma_f64 v[68:69], v[70:71], s[12:13], v[68:69]
	v_add_f64 v[154:155], v[72:73], v[96:97]
	v_add_f64 v[156:157], v[68:69], v[98:99]
	v_lshlrev_b32_e32 v68, 7, v136
	v_sub_nc_u32_e32 v192, v198, v68
	v_add_nc_u32_e32 v196, 0xc00, v192
	v_add_nc_u32_e32 v200, 0x2000, v192
	;; [unrolled: 1-line block ×8, first 2 shown]
	ds_read2_b64 v[88:91], v192 offset1:51
	ds_read2_b64 v[68:71], v196 offset0:126 offset1:177
	ds_read2_b64 v[128:131], v200 offset0:98 offset1:149
	;; [unrolled: 1-line block ×15, first 2 shown]
	ds_read_b64 v[132:133], v192 offset:13056
	s_waitcnt lgkmcnt(0)
	s_barrier
	buffer_gl0_inv
	ds_write2_b64 v198, v[0:1], v[152:153] offset1:1
	ds_write2_b64 v198, v[166:167], v[168:169] offset0:2 offset1:3
	ds_write2_b64 v198, v[162:163], v[164:165] offset0:4 offset1:5
	;; [unrolled: 1-line block ×7, first 2 shown]
	ds_write_b64 v198, v[134:135] offset:128
	s_and_saveexec_b32 s33, s0
	s_cbranch_execz .LBB0_17
; %bb.16:
	v_add_f64 v[0:1], v[26:27], v[2:3]
	v_add_f64 v[40:41], v[40:41], -v[52:53]
	v_add_f64 v[32:33], v[32:33], -v[48:49]
	;; [unrolled: 1-line block ×3, first 2 shown]
	s_mov_b32 s18, 0x5d8e7cdc
	s_mov_b32 s22, 0x2a9d6da3
	;; [unrolled: 1-line block ×16, first 2 shown]
	v_add_f64 v[28:29], v[28:29], -v[36:37]
	v_add_f64 v[26:27], v[6:7], v[26:27]
	v_add_f64 v[0:1], v[10:11], v[0:1]
	v_add_f64 v[16:17], v[16:17], -v[20:21]
	v_add_f64 v[10:11], v[14:15], v[10:11]
	v_mul_f64 v[20:21], v[4:5], s[22:23]
	v_mul_f64 v[36:37], v[4:5], s[24:25]
	v_add_f64 v[8:9], v[8:9], -v[12:13]
	v_mul_f64 v[12:13], v[4:5], s[20:21]
	s_mov_b32 s6, 0x75d4884
	s_mov_b32 s4, 0x2b2883cd
	;; [unrolled: 1-line block ×14, first 2 shown]
	v_add_f64 v[56:57], v[56:57], -v[64:65]
	v_add_f64 v[0:1], v[30:31], v[0:1]
	v_add_f64 v[30:31], v[38:39], v[30:31]
	v_add_f64 v[44:45], v[44:45], -v[60:61]
	s_mov_b32 s49, 0x3fe0d888
	s_mov_b32 s47, 0x3feec746
	s_mov_b32 s48, s16
	s_mov_b32 s46, s12
	v_mul_f64 v[140:141], v[8:9], s[48:49]
	v_mul_f64 v[142:143], v[8:9], s[46:47]
	s_mov_b32 s39, 0x3feca52d
	s_mov_b32 s41, 0x3fd71e95
	;; [unrolled: 1-line block ×4, first 2 shown]
	v_mul_f64 v[144:145], v[8:9], s[38:39]
	s_mov_b32 s45, 0x3fc7851a
	s_mov_b32 s43, 0x3fe58eea
	s_mov_b32 s44, s36
	s_mov_b32 s42, s22
	s_mov_b32 s51, 0x3fe9895b
	s_mov_b32 s50, s14
	v_add_f64 v[0:1], v[34:35], v[0:1]
	v_add_f64 v[34:35], v[50:51], v[34:35]
	v_fma_f64 v[154:155], v[10:11], s[34:35], -v[140:141]
	v_fma_f64 v[140:141], v[10:11], s[34:35], v[140:141]
	v_fma_f64 v[156:157], v[10:11], s[28:29], -v[142:143]
	v_fma_f64 v[142:143], v[10:11], s[28:29], v[142:143]
	;; [unrolled: 2-line block ×3, first 2 shown]
	v_add_f64 v[0:1], v[42:43], v[0:1]
	v_add_f64 v[42:43], v[54:55], v[42:43]
	;; [unrolled: 1-line block ×8, first 2 shown]
	v_mul_f64 v[134:135], v[8:9], s[36:37]
	v_add_f64 v[58:59], v[22:23], v[58:59]
	v_mul_f64 v[22:23], v[4:5], s[18:19]
	v_fma_f64 v[152:153], v[10:11], s[26:27], -v[134:135]
	v_fma_f64 v[134:135], v[10:11], s[26:27], v[134:135]
	v_add_f64 v[58:59], v[66:67], v[58:59]
	v_add_f64 v[58:59], v[62:63], v[58:59]
	;; [unrolled: 1-line block ×3, first 2 shown]
	v_fma_f64 v[54:55], v[26:27], s[4:5], -v[36:37]
	v_fma_f64 v[36:37], v[26:27], s[4:5], v[36:37]
	v_fma_f64 v[58:59], v[26:27], s[0:1], -v[12:13]
	v_fma_f64 v[12:13], v[26:27], s[0:1], v[12:13]
	v_add_f64 v[48:49], v[50:51], v[52:53]
	v_fma_f64 v[50:51], v[26:27], s[10:11], -v[22:23]
	v_fma_f64 v[22:23], v[26:27], s[10:11], v[22:23]
	v_fma_f64 v[52:53], v[26:27], s[6:7], -v[20:21]
	v_fma_f64 v[20:21], v[26:27], s[6:7], v[20:21]
	v_add_f64 v[36:37], v[2:3], v[36:37]
	v_add_f64 v[12:13], v[2:3], v[12:13]
	;; [unrolled: 1-line block ×3, first 2 shown]
	v_mul_f64 v[38:39], v[4:5], s[12:13]
	v_mul_f64 v[48:49], v[4:5], s[14:15]
	v_add_f64 v[22:23], v[2:3], v[22:23]
	v_add_f64 v[20:21], v[2:3], v[20:21]
	;; [unrolled: 1-line block ×3, first 2 shown]
	v_mul_f64 v[134:135], v[28:29], s[42:43]
	v_add_f64 v[14:15], v[14:15], v[24:25]
	v_mul_f64 v[24:25], v[4:5], s[16:17]
	v_mul_f64 v[4:5], v[4:5], s[36:37]
	v_fma_f64 v[60:61], v[26:27], s[28:29], -v[38:39]
	v_fma_f64 v[38:39], v[26:27], s[28:29], v[38:39]
	v_fma_f64 v[62:63], v[26:27], s[30:31], -v[48:49]
	v_fma_f64 v[48:49], v[26:27], s[30:31], v[48:49]
	;; [unrolled: 2-line block ×4, first 2 shown]
	v_add_f64 v[26:27], v[2:3], v[50:51]
	v_add_f64 v[50:51], v[2:3], v[52:53]
	;; [unrolled: 1-line block ×13, first 2 shown]
	v_mul_f64 v[6:7], v[8:9], s[22:23]
	v_mul_f64 v[14:15], v[8:9], s[20:21]
	;; [unrolled: 1-line block ×4, first 2 shown]
	v_add_f64 v[38:39], v[140:141], v[38:39]
	v_mul_f64 v[140:141], v[28:29], s[18:19]
	v_add_f64 v[48:49], v[142:143], v[48:49]
	v_mul_f64 v[142:143], v[28:29], s[20:21]
	v_add_f64 v[24:25], v[144:145], v[24:25]
	v_fma_f64 v[146:147], v[10:11], s[6:7], -v[6:7]
	v_fma_f64 v[6:7], v[10:11], s[6:7], v[6:7]
	v_fma_f64 v[148:149], v[10:11], s[0:1], -v[14:15]
	v_fma_f64 v[14:15], v[10:11], s[0:1], v[14:15]
	;; [unrolled: 2-line block ×5, first 2 shown]
	v_add_f64 v[10:11], v[146:147], v[26:27]
	v_add_f64 v[6:7], v[6:7], v[22:23]
	;; [unrolled: 1-line block ×9, first 2 shown]
	v_mul_f64 v[54:55], v[28:29], s[24:25]
	v_mul_f64 v[58:59], v[28:29], s[14:15]
	;; [unrolled: 1-line block ×5, first 2 shown]
	v_fma_f64 v[154:155], v[30:31], s[6:7], -v[134:135]
	v_fma_f64 v[156:157], v[30:31], s[10:11], -v[140:141]
	v_fma_f64 v[134:135], v[30:31], s[6:7], v[134:135]
	v_fma_f64 v[140:141], v[30:31], s[10:11], v[140:141]
	v_add_f64 v[2:3], v[8:9], v[2:3]
	s_mov_b32 s45, 0x3fefdd0d
	s_mov_b32 s44, s20
	v_add_f64 v[24:25], v[142:143], v[24:25]
	v_fma_f64 v[146:147], v[30:31], s[4:5], -v[54:55]
	v_fma_f64 v[148:149], v[30:31], s[30:31], -v[58:59]
	;; [unrolled: 1-line block ×3, first 2 shown]
	v_fma_f64 v[60:61], v[30:31], s[26:27], v[60:61]
	v_fma_f64 v[152:153], v[30:31], s[28:29], -v[66:67]
	v_fma_f64 v[66:67], v[30:31], s[28:29], v[66:67]
	v_fma_f64 v[54:55], v[30:31], s[4:5], v[54:55]
	;; [unrolled: 1-line block ×3, first 2 shown]
	v_fma_f64 v[164:165], v[30:31], s[34:35], -v[28:29]
	v_fma_f64 v[28:29], v[30:31], s[34:35], v[28:29]
	v_add_f64 v[30:31], v[158:159], v[62:63]
	v_add_f64 v[62:63], v[160:161], v[64:65]
	v_mul_f64 v[64:65], v[32:33], s[24:25]
	v_add_f64 v[38:39], v[134:135], v[38:39]
	v_add_f64 v[48:49], v[140:141], v[48:49]
	v_mul_f64 v[134:135], v[32:33], s[50:51]
	v_add_f64 v[8:9], v[146:147], v[10:11]
	v_add_f64 v[10:11], v[148:149], v[22:23]
	;; [unrolled: 1-line block ×8, first 2 shown]
	v_mul_f64 v[52:53], v[32:33], s[20:21]
	v_mul_f64 v[60:61], v[32:33], s[40:41]
	v_mul_f64 v[66:67], v[32:33], s[16:17]
	v_add_f64 v[6:7], v[54:55], v[6:7]
	v_add_f64 v[14:15], v[58:59], v[14:15]
	v_mul_f64 v[54:55], v[32:33], s[36:37]
	v_mul_f64 v[58:59], v[32:33], s[46:47]
	;; [unrolled: 1-line block ×3, first 2 shown]
	v_fma_f64 v[150:151], v[34:35], s[4:5], -v[64:65]
	v_fma_f64 v[64:65], v[34:35], s[4:5], v[64:65]
	v_fma_f64 v[154:155], v[34:35], s[30:31], -v[134:135]
	v_fma_f64 v[134:135], v[34:35], s[30:31], v[134:135]
	v_add_f64 v[2:3], v[28:29], v[2:3]
	v_add_f64 v[30:31], v[162:163], v[30:31]
	v_fma_f64 v[140:141], v[34:35], s[0:1], -v[52:53]
	v_fma_f64 v[52:53], v[34:35], s[0:1], v[52:53]
	v_fma_f64 v[148:149], v[34:35], s[10:11], -v[60:61]
	v_fma_f64 v[60:61], v[34:35], s[10:11], v[60:61]
	v_fma_f64 v[152:153], v[34:35], s[34:35], -v[66:67]
	v_fma_f64 v[144:145], v[34:35], s[26:27], -v[54:55]
	v_fma_f64 v[54:55], v[34:35], s[26:27], v[54:55]
	v_fma_f64 v[146:147], v[34:35], s[28:29], -v[58:59]
	v_fma_f64 v[58:59], v[34:35], s[28:29], v[58:59]
	v_fma_f64 v[66:67], v[34:35], s[34:35], v[66:67]
	v_fma_f64 v[156:157], v[34:35], s[6:7], -v[32:33]
	v_fma_f64 v[32:33], v[34:35], s[6:7], v[32:33]
	v_add_f64 v[34:35], v[164:165], v[62:63]
	v_add_f64 v[28:29], v[150:151], v[36:37]
	;; [unrolled: 1-line block ×3, first 2 shown]
	v_mul_f64 v[62:63], v[40:41], s[44:45]
	v_mul_f64 v[64:65], v[40:41], s[18:19]
	v_add_f64 v[24:25], v[134:135], v[24:25]
	v_add_f64 v[30:31], v[154:155], v[30:31]
	;; [unrolled: 1-line block ×4, first 2 shown]
	v_mul_f64 v[52:53], v[40:41], s[48:49]
	v_add_f64 v[12:13], v[60:61], v[12:13]
	v_add_f64 v[38:39], v[152:153], v[50:51]
	v_mul_f64 v[50:51], v[40:41], s[12:13]
	v_mul_f64 v[60:61], v[40:41], s[36:37]
	v_add_f64 v[14:15], v[54:55], v[14:15]
	v_add_f64 v[20:21], v[146:147], v[20:21]
	;; [unrolled: 1-line block ×5, first 2 shown]
	v_mul_f64 v[54:55], v[40:41], s[42:43]
	v_mul_f64 v[58:59], v[40:41], s[24:25]
	;; [unrolled: 1-line block ×3, first 2 shown]
	v_fma_f64 v[148:149], v[42:43], s[0:1], -v[62:63]
	v_fma_f64 v[62:63], v[42:43], s[0:1], v[62:63]
	v_add_f64 v[10:11], v[144:145], v[10:11]
	v_fma_f64 v[150:151], v[42:43], s[10:11], -v[64:65]
	v_fma_f64 v[64:65], v[42:43], s[10:11], v[64:65]
	v_add_f64 v[2:3], v[32:33], v[2:3]
	v_add_f64 v[34:35], v[156:157], v[34:35]
	v_fma_f64 v[140:141], v[42:43], s[34:35], -v[52:53]
	v_fma_f64 v[52:53], v[42:43], s[34:35], v[52:53]
	v_fma_f64 v[66:67], v[42:43], s[28:29], -v[50:51]
	v_fma_f64 v[50:51], v[42:43], s[28:29], v[50:51]
	;; [unrolled: 2-line block ×6, first 2 shown]
	v_add_f64 v[42:43], v[62:63], v[48:49]
	v_mul_f64 v[48:49], v[44:45], s[46:47]
	v_add_f64 v[24:25], v[64:65], v[24:25]
	v_add_f64 v[30:31], v[150:151], v[30:31]
	;; [unrolled: 1-line block ×4, first 2 shown]
	v_mul_f64 v[52:53], v[44:45], s[16:17]
	v_add_f64 v[8:9], v[66:67], v[8:9]
	v_add_f64 v[6:7], v[50:51], v[6:7]
	v_mul_f64 v[50:51], v[44:45], s[18:19]
	v_add_f64 v[32:33], v[60:61], v[36:37]
	v_add_f64 v[36:37], v[148:149], v[38:39]
	v_mul_f64 v[38:39], v[44:45], s[14:15]
	v_mul_f64 v[60:61], v[44:45], s[36:37]
	v_add_f64 v[20:21], v[142:143], v[20:21]
	v_add_f64 v[22:23], v[54:55], v[22:23]
	v_mul_f64 v[54:55], v[44:45], s[44:45]
	v_add_f64 v[12:13], v[58:59], v[12:13]
	v_mul_f64 v[58:59], v[44:45], s[22:23]
	v_mul_f64 v[44:45], v[44:45], s[38:39]
	v_add_f64 v[26:27], v[144:145], v[26:27]
	v_fma_f64 v[66:67], v[46:47], s[28:29], -v[48:49]
	v_fma_f64 v[48:49], v[46:47], s[28:29], v[48:49]
	v_add_f64 v[28:29], v[146:147], v[28:29]
	v_add_f64 v[2:3], v[40:41], v[2:3]
	v_mul_f64 v[40:41], v[56:57], s[38:39]
	v_add_f64 v[34:35], v[152:153], v[34:35]
	v_fma_f64 v[140:141], v[46:47], s[34:35], -v[52:53]
	v_fma_f64 v[52:53], v[46:47], s[34:35], v[52:53]
	v_fma_f64 v[134:135], v[46:47], s[10:11], -v[50:51]
	v_fma_f64 v[50:51], v[46:47], s[10:11], v[50:51]
	;; [unrolled: 2-line block ×7, first 2 shown]
	v_add_f64 v[14:15], v[48:49], v[14:15]
	v_mul_f64 v[46:47], v[56:57], s[20:21]
	v_mul_f64 v[48:49], v[56:57], s[50:51]
	v_add_f64 v[10:11], v[66:67], v[10:11]
	v_add_f64 v[26:27], v[140:141], v[26:27]
	;; [unrolled: 1-line block ×3, first 2 shown]
	v_mul_f64 v[52:53], v[56:57], s[36:37]
	v_add_f64 v[20:21], v[134:135], v[20:21]
	v_add_f64 v[22:23], v[50:51], v[22:23]
	v_mul_f64 v[50:51], v[56:57], s[18:19]
	v_add_f64 v[8:9], v[62:63], v[8:9]
	v_add_f64 v[6:7], v[38:39], v[6:7]
	;; [unrolled: 3-line block ×3, first 2 shown]
	v_add_f64 v[32:33], v[54:55], v[32:33]
	v_mul_f64 v[54:55], v[56:57], s[42:43]
	v_add_f64 v[42:43], v[58:59], v[42:43]
	v_fma_f64 v[58:59], v[0:1], s[4:5], -v[40:41]
	v_add_f64 v[2:3], v[44:45], v[2:3]
	v_fma_f64 v[40:41], v[0:1], s[4:5], v[40:41]
	v_fma_f64 v[60:61], v[0:1], s[0:1], -v[46:47]
	v_fma_f64 v[46:47], v[0:1], s[0:1], v[46:47]
	v_fma_f64 v[62:63], v[0:1], s[30:31], -v[48:49]
	v_fma_f64 v[48:49], v[0:1], s[30:31], v[48:49]
	v_mul_f64 v[56:57], v[56:57], s[12:13]
	v_add_f64 v[36:37], v[144:145], v[36:37]
	v_add_f64 v[30:31], v[146:147], v[30:31]
	v_fma_f64 v[66:67], v[0:1], s[26:27], -v[52:53]
	v_fma_f64 v[52:53], v[0:1], s[26:27], v[52:53]
	v_add_f64 v[34:35], v[148:149], v[34:35]
	v_fma_f64 v[64:65], v[0:1], s[10:11], -v[50:51]
	v_fma_f64 v[50:51], v[0:1], s[10:11], v[50:51]
	v_fma_f64 v[44:45], v[0:1], s[34:35], -v[38:39]
	v_fma_f64 v[38:39], v[0:1], s[34:35], v[38:39]
	;; [unrolled: 2-line block ×3, first 2 shown]
	v_add_f64 v[10:11], v[58:59], v[10:11]
	v_add_f64 v[14:15], v[40:41], v[14:15]
	v_mul_f64 v[40:41], v[16:17], s[16:17]
	v_add_f64 v[22:23], v[46:47], v[22:23]
	v_mul_f64 v[46:47], v[16:17], s[14:15]
	;; [unrolled: 2-line block ×3, first 2 shown]
	v_fma_f64 v[140:141], v[0:1], s[28:29], -v[56:57]
	v_fma_f64 v[0:1], v[0:1], s[28:29], v[56:57]
	v_add_f64 v[36:37], v[66:67], v[36:37]
	v_add_f64 v[42:43], v[52:53], v[42:43]
	v_mul_f64 v[52:53], v[16:17], s[44:45]
	v_add_f64 v[20:21], v[60:61], v[20:21]
	v_add_f64 v[32:33], v[50:51], v[32:33]
	v_mul_f64 v[50:51], v[16:17], s[12:13]
	;; [unrolled: 3-line block ×3, first 2 shown]
	v_mul_f64 v[44:45], v[16:17], s[42:43]
	v_mul_f64 v[16:17], v[16:17], s[36:37]
	v_add_f64 v[24:25], v[54:55], v[24:25]
	v_add_f64 v[26:27], v[62:63], v[26:27]
	v_add_f64 v[28:29], v[64:65], v[28:29]
	v_add_f64 v[30:31], v[134:135], v[30:31]
	v_fma_f64 v[54:55], v[18:19], s[34:35], -v[40:41]
	v_fma_f64 v[40:41], v[18:19], s[34:35], v[40:41]
	v_fma_f64 v[58:59], v[18:19], s[30:31], -v[46:47]
	v_fma_f64 v[46:47], v[18:19], s[30:31], v[46:47]
	v_fma_f64 v[60:61], v[18:19], s[4:5], -v[48:49]
	v_add_f64 v[34:35], v[140:141], v[34:35]
	v_add_f64 v[0:1], v[0:1], v[2:3]
	v_fma_f64 v[48:49], v[18:19], s[4:5], v[48:49]
	v_fma_f64 v[64:65], v[18:19], s[0:1], -v[52:53]
	v_fma_f64 v[52:53], v[18:19], s[0:1], v[52:53]
	v_fma_f64 v[62:63], v[18:19], s[28:29], -v[50:51]
	;; [unrolled: 2-line block ×4, first 2 shown]
	v_fma_f64 v[56:57], v[18:19], s[6:7], -v[44:45]
	v_fma_f64 v[44:45], v[18:19], s[6:7], v[44:45]
	v_fma_f64 v[16:17], v[18:19], s[26:27], v[16:17]
	v_add_f64 v[22:23], v[40:41], v[22:23]
	v_add_f64 v[32:33], v[46:47], v[32:33]
	;; [unrolled: 1-line block ×16, first 2 shown]
	v_mad_u32_u24 v16, 0x88, v137, 0
	ds_write2_b64 v16, v[4:5], v[8:9] offset1:1
	ds_write2_b64 v16, v[2:3], v[14:15] offset0:2 offset1:3
	ds_write2_b64 v16, v[18:19], v[20:21] offset0:4 offset1:5
	;; [unrolled: 1-line block ×7, first 2 shown]
	ds_write_b64 v16, v[6:7] offset:128
.LBB0_17:
	s_or_b32 exec_lo, exec_lo, s33
	v_and_b32_e32 v46, 0xff, v136
	v_mov_b32_e32 v52, 5
	s_waitcnt lgkmcnt(0)
	s_barrier
	buffer_gl0_inv
	v_mul_lo_u16 v46, 0xf1, v46
	ds_read2_b64 v[20:23], v192 offset1:51
	ds_read2_b64 v[0:3], v196 offset0:126 offset1:177
	ds_read2_b64 v[60:63], v200 offset0:98 offset1:149
	;; [unrolled: 1-line block ×15, first 2 shown]
	ds_read_b64 v[44:45], v192 offset:13056
	v_add_nc_u32_e32 v203, 0x66, v136
	v_add_nc_u32_e32 v204, 0x99, v136
	;; [unrolled: 1-line block ×3, first 2 shown]
	v_lshrrev_b16 v153, 12, v46
	v_add_nc_u32_e32 v206, 0xff, v136
	v_and_b32_e32 v148, 0xff, v203
	v_add_nc_u32_e32 v207, 0x132, v136
	v_add_nc_u32_e32 v208, 0x165, v136
	v_mul_lo_u16 v46, v153, 17
	v_add_nc_u32_e32 v209, 0x198, v136
	v_add_nc_u32_e32 v199, 0x1cb, v136
	v_add_nc_u32_e32 v198, 0x1fe, v136
	s_mov_b32 s0, 0xe8584caa
	v_sub_nc_u16 v154, v136, v46
	s_mov_b32 s1, 0xbfebb67a
	s_mov_b32 s5, 0x3febb67a
	s_mov_b32 s4, s0
	s_mov_b32 s6, 0xf8bb580b
	v_lshlrev_b32_sdwa v46, v52, v154 dst_sel:DWORD dst_unused:UNUSED_PAD src0_sel:DWORD src1_sel:BYTE_0
	s_mov_b32 s14, 0x8eee2c13
	s_mov_b32 s18, 0x43842ef
	;; [unrolled: 1-line block ×4, first 2 shown]
	s_clause 0x1
	global_load_dwordx4 v[53:56], v46, s[8:9] offset:16
	global_load_dwordx4 v[48:51], v46, s[8:9]
	s_mov_b32 s7, 0xbfe14ced
	s_mov_b32 s15, 0xbfed1bb4
	;; [unrolled: 1-line block ×25, first 2 shown]
	s_waitcnt vmcnt(0) lgkmcnt(15)
	v_mul_f64 v[46:47], v[2:3], v[50:51]
	v_mul_f64 v[50:51], v[70:71], v[50:51]
	v_fma_f64 v[46:47], v[70:71], v[48:49], v[46:47]
	v_fma_f64 v[2:3], v[2:3], v[48:49], -v[50:51]
	s_waitcnt lgkmcnt(14)
	v_mul_f64 v[48:49], v[60:61], v[55:56]
	v_mul_f64 v[50:51], v[128:129], v[55:56]
	v_mov_b32_e32 v55, 0xf0f1
	v_fma_f64 v[48:49], v[128:129], v[53:54], v[48:49]
	v_fma_f64 v[50:51], v[60:61], v[53:54], -v[50:51]
	v_and_b32_e32 v53, 0xff, v137
	v_mul_lo_u16 v53, 0xf1, v53
	v_lshrrev_b16 v155, 12, v53
	v_mul_lo_u16 v53, v155, 17
	v_sub_nc_u16 v156, v137, v53
	v_lshlrev_b32_sdwa v53, v52, v156 dst_sel:DWORD dst_unused:UNUSED_PAD src0_sel:DWORD src1_sel:BYTE_0
	s_clause 0x1
	global_load_dwordx4 v[64:67], v53, s[8:9] offset:16
	global_load_dwordx4 v[58:61], v53, s[8:9]
	s_waitcnt vmcnt(0) lgkmcnt(13)
	v_mul_f64 v[53:54], v[140:141], v[60:61]
	v_fma_f64 v[56:57], v[124:125], v[58:59], v[53:54]
	v_mul_f64 v[53:54], v[124:125], v[60:61]
	v_fma_f64 v[58:59], v[140:141], v[58:59], -v[53:54]
	v_mul_f64 v[53:54], v[62:63], v[66:67]
	v_fma_f64 v[60:61], v[130:131], v[64:65], v[53:54]
	v_mul_f64 v[53:54], v[130:131], v[66:67]
	v_fma_f64 v[62:63], v[62:63], v[64:65], -v[53:54]
	v_mul_lo_u16 v53, 0xf1, v148
	v_lshrrev_b16 v157, 12, v53
	v_mul_lo_u16 v53, v157, 17
	v_sub_nc_u16 v158, v203, v53
	v_lshlrev_b32_sdwa v53, v52, v158 dst_sel:DWORD dst_unused:UNUSED_PAD src0_sel:DWORD src1_sel:BYTE_0
	s_clause 0x1
	global_load_dwordx4 v[128:131], v53, s[8:9] offset:16
	global_load_dwordx4 v[149:152], v53, s[8:9]
	s_waitcnt vmcnt(0)
	v_mul_f64 v[53:54], v[142:143], v[151:152]
	v_fma_f64 v[66:67], v[126:127], v[149:150], v[53:54]
	v_mul_f64 v[53:54], v[126:127], v[151:152]
	v_fma_f64 v[70:71], v[142:143], v[149:150], -v[53:54]
	s_waitcnt lgkmcnt(11)
	v_mul_f64 v[53:54], v[144:145], v[130:131]
	v_fma_f64 v[124:125], v[120:121], v[128:129], v[53:54]
	v_mul_f64 v[53:54], v[120:121], v[130:131]
	v_fma_f64 v[130:131], v[144:145], v[128:129], -v[53:54]
	v_and_b32_e32 v53, 0xff, v204
	v_mul_lo_u16 v53, 0xf1, v53
	v_lshrrev_b16 v149, 12, v53
	v_mul_lo_u16 v53, v149, 17
	v_sub_nc_u16 v150, v204, v53
	v_lshlrev_b32_sdwa v53, v52, v150 dst_sel:DWORD dst_unused:UNUSED_PAD src0_sel:DWORD src1_sel:BYTE_0
	s_clause 0x1
	global_load_dwordx4 v[140:143], v53, s[8:9] offset:16
	global_load_dwordx4 v[126:129], v53, s[8:9]
	s_waitcnt vmcnt(0) lgkmcnt(10)
	v_mul_f64 v[53:54], v[159:160], v[128:129]
	v_fma_f64 v[120:121], v[116:117], v[126:127], v[53:54]
	v_mul_f64 v[53:54], v[116:117], v[128:129]
	v_fma_f64 v[126:127], v[159:160], v[126:127], -v[53:54]
	v_mul_f64 v[53:54], v[146:147], v[142:143]
	v_fma_f64 v[128:129], v[122:123], v[140:141], v[53:54]
	v_mul_f64 v[53:54], v[122:123], v[142:143]
	v_fma_f64 v[134:135], v[146:147], v[140:141], -v[53:54]
	v_and_b32_e32 v53, 0xff, v205
	v_mul_lo_u16 v53, 0xf1, v53
	v_lshrrev_b16 v151, 12, v53
	v_mul_lo_u16 v53, v151, 17
	v_sub_nc_u16 v152, v205, v53
	v_lshlrev_b32_sdwa v53, v52, v152 dst_sel:DWORD dst_unused:UNUSED_PAD src0_sel:DWORD src1_sel:BYTE_0
	s_clause 0x1
	global_load_dwordx4 v[140:143], v53, s[8:9] offset:16
	global_load_dwordx4 v[144:147], v53, s[8:9]
	s_waitcnt vmcnt(0)
	v_mul_f64 v[53:54], v[161:162], v[146:147]
	v_fma_f64 v[116:117], v[118:119], v[144:145], v[53:54]
	v_mul_f64 v[53:54], v[118:119], v[146:147]
	v_fma_f64 v[118:119], v[161:162], v[144:145], -v[53:54]
	s_waitcnt lgkmcnt(8)
	v_mul_f64 v[53:54], v[163:164], v[142:143]
	v_fma_f64 v[122:123], v[112:113], v[140:141], v[53:54]
	v_mul_f64 v[53:54], v[112:113], v[142:143]
	v_fma_f64 v[112:113], v[163:164], v[140:141], -v[53:54]
	v_mul_u32_u24_sdwa v53, v206, v55 dst_sel:DWORD dst_unused:UNUSED_PAD src0_sel:WORD_0 src1_sel:DWORD
	v_lshrrev_b32_e32 v159, 20, v53
	v_mul_lo_u16 v53, v159, 17
	v_sub_nc_u16 v160, v206, v53
	v_lshlrev_b32_sdwa v53, v52, v160 dst_sel:DWORD dst_unused:UNUSED_PAD src0_sel:DWORD src1_sel:WORD_0
	s_clause 0x1
	global_load_dwordx4 v[161:164], v53, s[8:9] offset:16
	global_load_dwordx4 v[144:147], v53, s[8:9]
	s_waitcnt vmcnt(0) lgkmcnt(7)
	v_mul_f64 v[53:54], v[40:41], v[146:147]
	v_fma_f64 v[142:143], v[108:109], v[144:145], v[53:54]
	v_mul_f64 v[53:54], v[108:109], v[146:147]
	v_fma_f64 v[144:145], v[40:41], v[144:145], -v[53:54]
	v_mul_f64 v[40:41], v[165:166], v[163:164]
	v_fma_f64 v[146:147], v[114:115], v[161:162], v[40:41]
	v_mul_f64 v[40:41], v[114:115], v[163:164]
	v_fma_f64 v[114:115], v[165:166], v[161:162], -v[40:41]
	v_mul_u32_u24_sdwa v40, v207, v55 dst_sel:DWORD dst_unused:UNUSED_PAD src0_sel:WORD_0 src1_sel:DWORD
	v_lshrrev_b32_e32 v161, 20, v40
	v_mul_lo_u16 v40, v161, 17
	v_sub_nc_u16 v162, v207, v40
	v_lshlrev_b32_sdwa v40, v52, v162 dst_sel:DWORD dst_unused:UNUSED_PAD src0_sel:DWORD src1_sel:WORD_0
	s_clause 0x1
	global_load_dwordx4 v[163:166], v40, s[8:9] offset:16
	global_load_dwordx4 v[167:170], v40, s[8:9]
	s_waitcnt vmcnt(0)
	v_mul_f64 v[40:41], v[42:43], v[169:170]
	v_fma_f64 v[171:172], v[110:111], v[167:168], v[40:41]
	v_mul_f64 v[40:41], v[110:111], v[169:170]
	v_fma_f64 v[173:174], v[42:43], v[167:168], -v[40:41]
	s_waitcnt lgkmcnt(5)
	v_mul_f64 v[40:41], v[36:37], v[165:166]
	v_fma_f64 v[175:176], v[104:105], v[163:164], v[40:41]
	v_mul_f64 v[40:41], v[104:105], v[165:166]
	v_fma_f64 v[177:178], v[36:37], v[163:164], -v[40:41]
	v_mul_u32_u24_sdwa v36, v208, v55 dst_sel:DWORD dst_unused:UNUSED_PAD src0_sel:WORD_0 src1_sel:DWORD
	v_lshrrev_b32_e32 v163, 20, v36
	v_mul_lo_u16 v36, v163, 17
	v_sub_nc_u16 v164, v208, v36
	v_lshlrev_b32_sdwa v36, v52, v164 dst_sel:DWORD dst_unused:UNUSED_PAD src0_sel:DWORD src1_sel:WORD_0
	s_clause 0x1
	global_load_dwordx4 v[40:43], v36, s[8:9] offset:16
	global_load_dwordx4 v[108:111], v36, s[8:9]
	s_waitcnt vmcnt(0) lgkmcnt(4)
	v_mul_f64 v[36:37], v[32:33], v[110:111]
	v_fma_f64 v[179:180], v[100:101], v[108:109], v[36:37]
	v_mul_f64 v[36:37], v[100:101], v[110:111]
	v_fma_f64 v[181:182], v[32:33], v[108:109], -v[36:37]
	v_mul_f64 v[32:33], v[38:39], v[42:43]
	v_fma_f64 v[183:184], v[106:107], v[40:41], v[32:33]
	v_mul_f64 v[32:33], v[106:107], v[42:43]
	v_fma_f64 v[185:186], v[38:39], v[40:41], -v[32:33]
	v_mul_u32_u24_sdwa v32, v209, v55 dst_sel:DWORD dst_unused:UNUSED_PAD src0_sel:WORD_0 src1_sel:DWORD
	v_lshrrev_b32_e32 v165, 20, v32
	v_mul_lo_u16 v32, v165, 17
	v_sub_nc_u16 v166, v209, v32
	v_lshlrev_b32_sdwa v32, v52, v166 dst_sel:DWORD dst_unused:UNUSED_PAD src0_sel:DWORD src1_sel:WORD_0
	;; [unrolled: 35-line block ×3, first 2 shown]
	s_clause 0x1
	global_load_dwordx4 v[28:31], v24, s[8:9] offset:16
	global_load_dwordx4 v[32:35], v24, s[8:9]
	s_waitcnt vmcnt(0) lgkmcnt(0)
	s_barrier
	buffer_gl0_inv
	v_mul_f64 v[24:25], v[26:27], v[34:35]
	v_fma_f64 v[222:223], v[94:95], v[32:33], v[24:25]
	v_mul_f64 v[24:25], v[94:95], v[34:35]
	v_fma_f64 v[224:225], v[26:27], v[32:33], -v[24:25]
	v_mul_f64 v[24:25], v[44:45], v[30:31]
	v_add_f64 v[26:27], v[2:3], -v[50:51]
	v_fma_f64 v[226:227], v[132:133], v[28:29], v[24:25]
	v_mul_f64 v[24:25], v[132:133], v[30:31]
	v_fma_f64 v[228:229], v[44:45], v[28:29], -v[24:25]
	v_add_f64 v[24:25], v[88:89], v[46:47]
	v_add_f64 v[132:133], v[24:25], v[48:49]
	;; [unrolled: 1-line block ×3, first 2 shown]
	v_fma_f64 v[24:25], v[24:25], -0.5, v[88:89]
	v_fma_f64 v[140:141], v[26:27], s[0:1], v[24:25]
	v_fma_f64 v[102:103], v[26:27], s[4:5], v[24:25]
	v_add_f64 v[24:25], v[20:21], v[2:3]
	v_add_f64 v[2:3], v[2:3], v[50:51]
	;; [unrolled: 1-line block ×3, first 2 shown]
	v_fma_f64 v[2:3], v[2:3], -0.5, v[20:21]
	v_add_f64 v[20:21], v[46:47], -v[48:49]
	v_fma_f64 v[52:53], v[20:21], s[4:5], v[2:3]
	v_fma_f64 v[42:43], v[20:21], s[0:1], v[2:3]
	v_add_f64 v[2:3], v[90:91], v[56:57]
	v_add_f64 v[20:21], v[58:59], -v[62:63]
	v_add_f64 v[100:101], v[2:3], v[60:61]
	v_add_f64 v[2:3], v[56:57], v[60:61]
	v_fma_f64 v[2:3], v[2:3], -0.5, v[90:91]
	v_fma_f64 v[106:107], v[20:21], s[0:1], v[2:3]
	v_fma_f64 v[104:105], v[20:21], s[4:5], v[2:3]
	v_add_f64 v[2:3], v[22:23], v[58:59]
	v_add_f64 v[20:21], v[56:57], -v[60:61]
	v_add_f64 v[54:55], v[2:3], v[62:63]
	v_add_f64 v[2:3], v[58:59], v[62:63]
	v_fma_f64 v[2:3], v[2:3], -0.5, v[22:23]
	;; [unrolled: 7-line block ×3, first 2 shown]
	v_fma_f64 v[98:99], v[20:21], s[0:1], v[2:3]
	v_fma_f64 v[92:93], v[20:21], s[4:5], v[2:3]
	v_add_f64 v[2:3], v[16:17], v[70:71]
	v_add_f64 v[64:65], v[2:3], v[130:131]
	;; [unrolled: 1-line block ×3, first 2 shown]
	v_mov_b32_e32 v130, 3
	v_lshlrev_b32_sdwa v131, v130, v154 dst_sel:DWORD dst_unused:UNUSED_PAD src0_sel:DWORD src1_sel:BYTE_0
	v_fma_f64 v[2:3], v[2:3], -0.5, v[16:17]
	v_add_f64 v[16:17], v[66:67], -v[124:125]
	v_fma_f64 v[70:71], v[16:17], s[4:5], v[2:3]
	v_fma_f64 v[66:67], v[16:17], s[0:1], v[2:3]
	v_add_f64 v[2:3], v[86:87], v[120:121]
	v_add_f64 v[16:17], v[126:127], -v[134:135]
	v_add_f64 v[84:85], v[2:3], v[128:129]
	v_add_f64 v[2:3], v[120:121], v[128:129]
	v_fma_f64 v[2:3], v[2:3], -0.5, v[86:87]
	v_fma_f64 v[94:95], v[16:17], s[0:1], v[2:3]
	v_fma_f64 v[86:87], v[16:17], s[4:5], v[2:3]
	v_add_f64 v[2:3], v[18:19], v[126:127]
	v_add_f64 v[16:17], v[120:121], -v[128:129]
	v_add_f64 v[88:89], v[2:3], v[134:135]
	v_add_f64 v[2:3], v[126:127], v[134:135]
	;; [unrolled: 1-line block ×3, first 2 shown]
	v_fma_f64 v[2:3], v[2:3], -0.5, v[18:19]
	v_fma_f64 v[108:109], v[16:17], s[4:5], v[2:3]
	v_fma_f64 v[90:91], v[16:17], s[0:1], v[2:3]
	v_add_f64 v[2:3], v[76:77], v[116:117]
	v_add_f64 v[16:17], v[118:119], -v[112:113]
	v_add_f64 v[56:57], v[2:3], v[122:123]
	v_add_f64 v[2:3], v[116:117], v[122:123]
	v_fma_f64 v[2:3], v[2:3], -0.5, v[76:77]
	v_fma_f64 v[58:59], v[16:17], s[0:1], v[2:3]
	v_fma_f64 v[46:47], v[16:17], s[4:5], v[2:3]
	v_add_f64 v[2:3], v[12:13], v[118:119]
	v_add_f64 v[16:17], v[144:145], -v[114:115]
	v_add_f64 v[76:77], v[2:3], v[112:113]
	v_add_f64 v[2:3], v[118:119], v[112:113]
	v_fma_f64 v[2:3], v[2:3], -0.5, v[12:13]
	v_add_f64 v[12:13], v[116:117], -v[122:123]
	v_fma_f64 v[110:111], v[12:13], s[4:5], v[2:3]
	v_fma_f64 v[12:13], v[12:13], s[0:1], v[2:3]
	v_add_f64 v[2:3], v[78:79], v[142:143]
	v_add_f64 v[44:45], v[2:3], v[146:147]
	;; [unrolled: 1-line block ×3, first 2 shown]
	v_fma_f64 v[2:3], v[2:3], -0.5, v[78:79]
	v_fma_f64 v[50:51], v[16:17], s[0:1], v[2:3]
	v_fma_f64 v[48:49], v[16:17], s[4:5], v[2:3]
	v_add_f64 v[2:3], v[14:15], v[144:145]
	v_add_f64 v[16:17], v[173:174], -v[177:178]
	v_add_f64 v[78:79], v[2:3], v[114:115]
	v_add_f64 v[2:3], v[144:145], v[114:115]
	v_fma_f64 v[2:3], v[2:3], -0.5, v[14:15]
	v_add_f64 v[14:15], v[142:143], -v[146:147]
	v_fma_f64 v[112:113], v[14:15], s[4:5], v[2:3]
	v_fma_f64 v[14:15], v[14:15], s[0:1], v[2:3]
	v_add_f64 v[2:3], v[80:81], v[171:172]
	v_add_f64 v[36:37], v[2:3], v[175:176]
	;; [unrolled: 1-line block ×3, first 2 shown]
	v_fma_f64 v[2:3], v[2:3], -0.5, v[80:81]
	v_fma_f64 v[38:39], v[16:17], s[0:1], v[2:3]
	v_fma_f64 v[30:31], v[16:17], s[4:5], v[2:3]
	v_add_f64 v[2:3], v[8:9], v[173:174]
	v_add_f64 v[80:81], v[2:3], v[177:178]
	v_add_f64 v[2:3], v[173:174], v[177:178]
	v_fma_f64 v[2:3], v[2:3], -0.5, v[8:9]
	v_add_f64 v[8:9], v[171:172], -v[175:176]
	v_fma_f64 v[116:117], v[8:9], s[4:5], v[2:3]
	v_fma_f64 v[114:115], v[8:9], s[0:1], v[2:3]
	v_add_f64 v[2:3], v[82:83], v[179:180]
	v_add_f64 v[8:9], v[181:182], -v[185:186]
	v_add_f64 v[28:29], v[2:3], v[183:184]
	v_add_f64 v[2:3], v[179:180], v[183:184]
	v_fma_f64 v[2:3], v[2:3], -0.5, v[82:83]
	v_fma_f64 v[34:35], v[8:9], s[0:1], v[2:3]
	v_fma_f64 v[32:33], v[8:9], s[4:5], v[2:3]
	v_add_f64 v[2:3], v[10:11], v[181:182]
	v_add_f64 v[8:9], v[179:180], -v[183:184]
	v_add_f64 v[82:83], v[2:3], v[185:186]
	v_add_f64 v[2:3], v[181:182], v[185:186]
	v_fma_f64 v[2:3], v[2:3], -0.5, v[10:11]
	;; [unrolled: 7-line block ×4, first 2 shown]
	v_add_f64 v[4:5], v[187:188], -v[210:211]
	v_fma_f64 v[122:123], v[4:5], s[4:5], v[2:3]
	v_fma_f64 v[4:5], v[4:5], s[0:1], v[2:3]
	v_add_f64 v[2:3], v[74:75], v[214:215]
	v_add_f64 v[18:19], v[2:3], v[218:219]
	v_add_f64 v[2:3], v[214:215], v[218:219]
	v_fma_f64 v[2:3], v[2:3], -0.5, v[74:75]
	v_fma_f64 v[22:23], v[8:9], s[0:1], v[2:3]
	v_fma_f64 v[16:17], v[8:9], s[4:5], v[2:3]
	v_add_f64 v[2:3], v[6:7], v[216:217]
	v_add_f64 v[74:75], v[2:3], v[220:221]
	;; [unrolled: 1-line block ×3, first 2 shown]
	v_fma_f64 v[2:3], v[2:3], -0.5, v[6:7]
	v_add_f64 v[6:7], v[214:215], -v[218:219]
	v_fma_f64 v[124:125], v[6:7], s[4:5], v[2:3]
	v_fma_f64 v[6:7], v[6:7], s[0:1], v[2:3]
	v_add_f64 v[2:3], v[68:69], v[222:223]
	v_add_f64 v[8:9], v[2:3], v[226:227]
	;; [unrolled: 1-line block ×3, first 2 shown]
	v_fma_f64 v[2:3], v[2:3], -0.5, v[68:69]
	v_add_f64 v[68:69], v[224:225], -v[228:229]
	v_fma_f64 v[10:11], v[68:69], s[0:1], v[2:3]
	v_fma_f64 v[2:3], v[68:69], s[4:5], v[2:3]
	v_add_f64 v[68:69], v[0:1], v[224:225]
	v_fma_f64 v[0:1], v[126:127], -0.5, v[0:1]
	v_add_f64 v[126:127], v[222:223], -v[226:227]
	v_add_f64 v[68:69], v[68:69], v[228:229]
	v_fma_f64 v[128:129], v[126:127], s[4:5], v[0:1]
	v_fma_f64 v[126:127], v[126:127], s[0:1], v[0:1]
	v_mov_b32_e32 v0, 0x198
	v_mul_u32_u24_sdwa v1, v153, v0 dst_sel:DWORD dst_unused:UNUSED_PAD src0_sel:WORD_0 src1_sel:DWORD
	v_add3_u32 v131, 0, v1, v131
	ds_write2_b64 v131, v[132:133], v[140:141] offset1:17
	ds_write_b64 v131, v[102:103] offset:272
	v_mul_u32_u24_sdwa v1, v155, v0 dst_sel:DWORD dst_unused:UNUSED_PAD src0_sel:WORD_0 src1_sel:DWORD
	v_lshlrev_b32_sdwa v102, v130, v156 dst_sel:DWORD dst_unused:UNUSED_PAD src0_sel:DWORD src1_sel:BYTE_0
	v_add3_u32 v132, 0, v1, v102
	ds_write2_b64 v132, v[100:101], v[106:107] offset1:17
	ds_write_b64 v132, v[104:105] offset:272
	v_mul_u32_u24_sdwa v1, v157, v0 dst_sel:DWORD dst_unused:UNUSED_PAD src0_sel:WORD_0 src1_sel:DWORD
	v_lshlrev_b32_sdwa v100, v130, v158 dst_sel:DWORD dst_unused:UNUSED_PAD src0_sel:DWORD src1_sel:BYTE_0
	;; [unrolled: 5-line block ×3, first 2 shown]
	v_mul_u32_u24_sdwa v0, v151, v0 dst_sel:DWORD dst_unused:UNUSED_PAD src0_sel:WORD_0 src1_sel:DWORD
	v_add3_u32 v134, 0, v1, v92
	v_lshlrev_b32_sdwa v1, v130, v152 dst_sel:DWORD dst_unused:UNUSED_PAD src0_sel:DWORD src1_sel:BYTE_0
	ds_write2_b64 v134, v[84:85], v[94:95] offset1:17
	ds_write_b64 v134, v[86:87] offset:272
	v_add3_u32 v135, 0, v0, v1
	v_mul_u32_u24_e32 v0, 0x198, v159
	v_lshlrev_b32_sdwa v1, v130, v160 dst_sel:DWORD dst_unused:UNUSED_PAD src0_sel:DWORD src1_sel:WORD_0
	ds_write2_b64 v135, v[56:57], v[58:59] offset1:17
	ds_write_b64 v135, v[46:47] offset:272
	v_add3_u32 v140, 0, v0, v1
	v_mul_u32_u24_e32 v0, 0x198, v161
	v_lshlrev_b32_sdwa v1, v130, v162 dst_sel:DWORD dst_unused:UNUSED_PAD src0_sel:DWORD src1_sel:WORD_0
	;; [unrolled: 5-line block ×6, first 2 shown]
	ds_write2_b64 v144, v[18:19], v[22:23] offset1:17
	ds_write_b64 v144, v[16:17] offset:272
	v_add3_u32 v130, 0, v0, v1
	ds_write2_b64 v130, v[8:9], v[10:11] offset1:17
	ds_write_b64 v130, v[2:3] offset:272
	s_waitcnt lgkmcnt(0)
	s_barrier
	buffer_gl0_inv
	ds_read2_b64 v[8:11], v192 offset1:51
	ds_read2_b64 v[0:3], v192 offset0:102 offset1:153
	ds_read2_b64 v[104:107], v197 offset0:50 offset1:101
	;; [unrolled: 1-line block ×15, first 2 shown]
	ds_read_b64 v[164:165], v192 offset:13056
	s_waitcnt lgkmcnt(0)
	s_barrier
	buffer_gl0_inv
	ds_write2_b64 v131, v[40:41], v[52:53] offset1:17
	ds_write_b64 v131, v[42:43] offset:272
	ds_write2_b64 v132, v[54:55], v[62:63] offset1:17
	ds_write_b64 v132, v[60:61] offset:272
	;; [unrolled: 2-line block ×11, first 2 shown]
	v_mul_u32_u24_e32 v128, 10, v136
	s_waitcnt lgkmcnt(0)
	s_barrier
	buffer_gl0_inv
	ds_read2_b64 v[12:15], v192 offset1:51
	ds_read2_b64 v[4:7], v192 offset0:102 offset1:153
	ds_read2_b64 v[124:127], v197 offset0:50 offset1:101
	;; [unrolled: 1-line block ×15, first 2 shown]
	ds_read_b64 v[178:179], v192 offset:13056
	v_lshlrev_b32_e32 v153, 4, v128
	s_clause 0x3
	global_load_dwordx4 v[128:131], v153, s[8:9] offset:592
	global_load_dwordx4 v[132:135], v153, s[8:9] offset:576
	global_load_dwordx4 v[140:143], v153, s[8:9] offset:560
	global_load_dwordx4 v[144:147], v153, s[8:9] offset:544
	s_waitcnt vmcnt(0) lgkmcnt(15)
	v_mul_f64 v[149:150], v[6:7], v[146:147]
	v_fma_f64 v[184:185], v[2:3], v[144:145], v[149:150]
	s_clause 0x3
	global_load_dwordx4 v[149:152], v153, s[8:9] offset:656
	global_load_dwordx4 v[210:213], v153, s[8:9] offset:640
	;; [unrolled: 1-line block ×4, first 2 shown]
	v_mul_f64 v[2:3], v[2:3], v[146:147]
	s_clause 0x1
	global_load_dwordx4 v[222:225], v153, s[8:9] offset:688
	global_load_dwordx4 v[226:229], v153, s[8:9] offset:672
	v_fma_f64 v[186:187], v[6:7], v[144:145], -v[2:3]
	s_waitcnt lgkmcnt(14)
	v_mul_f64 v[2:3], v[124:125], v[142:143]
	v_fma_f64 v[180:181], v[104:105], v[140:141], v[2:3]
	v_mul_f64 v[2:3], v[104:105], v[142:143]
	v_fma_f64 v[174:175], v[124:125], v[140:141], -v[2:3]
	s_waitcnt lgkmcnt(13)
	v_mul_f64 v[2:3], v[82:83], v[134:135]
	v_fma_f64 v[170:171], v[50:51], v[132:133], v[2:3]
	v_mul_f64 v[2:3], v[50:51], v[134:135]
	;; [unrolled: 5-line block ×3, first 2 shown]
	v_fma_f64 v[160:161], v[120:121], v[128:129], -v[2:3]
	s_waitcnt vmcnt(2) lgkmcnt(11)
	v_mul_f64 v[2:3], v[74:75], v[220:221]
	v_fma_f64 v[120:121], v[38:39], v[218:219], v[2:3]
	v_mul_f64 v[2:3], v[38:39], v[220:221]
	v_fma_f64 v[50:51], v[74:75], v[218:219], -v[2:3]
	s_waitcnt lgkmcnt(10)
	v_mul_f64 v[2:3], v[116:117], v[216:217]
	v_fma_f64 v[156:157], v[96:97], v[214:215], v[2:3]
	v_mul_f64 v[2:3], v[96:97], v[216:217]
	v_fma_f64 v[74:75], v[116:117], v[214:215], -v[2:3]
	s_waitcnt lgkmcnt(9)
	;; [unrolled: 5-line block ×3, first 2 shown]
	v_mul_f64 v[2:3], v[112:113], v[151:152]
	v_fma_f64 v[172:173], v[92:93], v[149:150], v[2:3]
	v_mul_f64 v[2:3], v[92:93], v[151:152]
	v_fma_f64 v[112:113], v[112:113], v[149:150], -v[2:3]
	s_waitcnt vmcnt(0) lgkmcnt(7)
	v_mul_f64 v[2:3], v[54:55], v[228:229]
	v_fma_f64 v[182:183], v[22:23], v[226:227], v[2:3]
	v_mul_f64 v[2:3], v[22:23], v[228:229]
	v_fma_f64 v[176:177], v[54:55], v[226:227], -v[2:3]
	s_waitcnt lgkmcnt(6)
	v_mul_f64 v[2:3], v[108:109], v[224:225]
	v_fma_f64 v[188:189], v[84:85], v[222:223], v[2:3]
	v_mul_f64 v[2:3], v[84:85], v[224:225]
	v_fma_f64 v[190:191], v[108:109], v[222:223], -v[2:3]
	s_waitcnt lgkmcnt(5)
	v_mul_f64 v[2:3], v[88:89], v[146:147]
	v_fma_f64 v[84:85], v[56:57], v[144:145], v[2:3]
	v_mul_f64 v[2:3], v[56:57], v[146:147]
	v_fma_f64 v[92:93], v[88:89], v[144:145], -v[2:3]
	v_mul_f64 v[2:3], v[126:127], v[142:143]
	v_fma_f64 v[100:101], v[106:107], v[140:141], v[2:3]
	v_mul_f64 v[2:3], v[106:107], v[142:143]
	v_fma_f64 v[104:105], v[126:127], v[140:141], -v[2:3]
	s_waitcnt lgkmcnt(4)
	v_mul_f64 v[2:3], v[76:77], v[134:135]
	v_fma_f64 v[82:83], v[44:45], v[132:133], v[2:3]
	v_mul_f64 v[2:3], v[44:45], v[134:135]
	v_fma_f64 v[76:77], v[76:77], v[132:133], -v[2:3]
	;; [unrolled: 9-line block ×5, first 2 shown]
	v_mul_f64 v[2:3], v[110:111], v[224:225]
	v_add_f64 v[40:41], v[186:187], -v[190:191]
	v_fma_f64 v[126:127], v[86:87], v[222:223], v[2:3]
	v_mul_f64 v[2:3], v[86:87], v[224:225]
	v_fma_f64 v[86:87], v[110:111], v[222:223], -v[2:3]
	v_mul_lo_u16 v2, 0xa1, v148
	v_lshrrev_b16 v2, 13, v2
	v_mul_lo_u16 v2, v2, 51
	v_sub_nc_u16 v2, v203, v2
	v_and_b32_e32 v210, 0xff, v2
	v_mul_u32_u24_e32 v2, 10, v210
	v_lshlrev_b32_e32 v16, 4, v2
	s_clause 0x3
	global_load_dwordx4 v[128:131], v16, s[8:9] offset:592
	global_load_dwordx4 v[148:151], v16, s[8:9] offset:576
	;; [unrolled: 1-line block ×4, first 2 shown]
	s_waitcnt vmcnt(0)
	v_mul_f64 v[2:3], v[90:91], v[142:143]
	v_fma_f64 v[144:145], v[58:59], v[140:141], v[2:3]
	v_mul_f64 v[2:3], v[58:59], v[142:143]
	v_fma_f64 v[146:147], v[90:91], v[140:141], -v[2:3]
	v_mul_f64 v[2:3], v[80:81], v[134:135]
	v_fma_f64 v[140:141], v[48:49], v[132:133], v[2:3]
	v_mul_f64 v[2:3], v[48:49], v[134:135]
	v_fma_f64 v[142:143], v[80:81], v[132:133], -v[2:3]
	;; [unrolled: 4-line block ×3, first 2 shown]
	v_mul_f64 v[2:3], v[72:73], v[130:131]
	v_fma_f64 v[78:79], v[36:37], v[128:129], v[2:3]
	v_mul_f64 v[2:3], v[36:37], v[130:131]
	v_add_f64 v[36:37], v[184:185], -v[188:189]
	v_fma_f64 v[72:73], v[72:73], v[128:129], -v[2:3]
	s_clause 0x3
	global_load_dwordx4 v[44:47], v16, s[8:9] offset:656
	global_load_dwordx4 v[56:59], v16, s[8:9] offset:640
	;; [unrolled: 1-line block ×4, first 2 shown]
	s_waitcnt vmcnt(0)
	v_mul_f64 v[2:3], v[70:71], v[90:91]
	v_fma_f64 v[80:81], v[34:35], v[88:89], v[2:3]
	v_mul_f64 v[2:3], v[34:35], v[90:91]
	v_fma_f64 v[70:71], v[70:71], v[88:89], -v[2:3]
	v_mul_f64 v[2:3], v[64:65], v[130:131]
	v_mul_f64 v[88:89], v[40:41], s[26:27]
	v_fma_f64 v[90:91], v[28:29], v[128:129], v[2:3]
	v_mul_f64 v[2:3], v[28:29], v[130:131]
	v_fma_f64 v[28:29], v[64:65], v[128:129], -v[2:3]
	v_mul_f64 v[2:3], v[62:63], v[58:59]
	v_fma_f64 v[148:149], v[26:27], v[56:57], v[2:3]
	v_mul_f64 v[2:3], v[26:27], v[58:59]
	s_clause 0x1
	global_load_dwordx4 v[24:27], v16, s[8:9] offset:688
	global_load_dwordx4 v[32:35], v16, s[8:9] offset:672
	v_add_f64 v[16:17], v[12:13], v[186:187]
	s_waitcnt vmcnt(0) lgkmcnt(0)
	s_barrier
	buffer_gl0_inv
	v_fma_f64 v[150:151], v[62:63], v[56:57], -v[2:3]
	v_mul_f64 v[2:3], v[52:53], v[46:47]
	v_add_f64 v[16:17], v[16:17], v[174:175]
	v_fma_f64 v[152:153], v[20:21], v[44:45], v[2:3]
	v_add_f64 v[16:17], v[16:17], v[168:169]
	v_mul_f64 v[2:3], v[20:21], v[46:47]
	v_add_f64 v[16:17], v[16:17], v[160:161]
	v_fma_f64 v[154:155], v[52:53], v[44:45], -v[2:3]
	v_mul_f64 v[52:53], v[40:41], s[18:19]
	v_add_f64 v[16:17], v[16:17], v[50:51]
	v_add_f64 v[16:17], v[16:17], v[74:75]
	v_add_f64 v[16:17], v[16:17], v[96:97]
	v_add_f64 v[16:17], v[16:17], v[112:113]
	v_add_f64 v[16:17], v[16:17], v[176:177]
	v_add_f64 v[64:65], v[16:17], v[190:191]
	v_mul_f64 v[2:3], v[42:43], v[34:35]
	v_fma_f64 v[158:159], v[18:19], v[32:33], v[2:3]
	v_mul_f64 v[2:3], v[18:19], v[34:35]
	v_add_f64 v[34:35], v[186:187], v[190:191]
	v_fma_f64 v[18:19], v[42:43], v[32:33], -v[2:3]
	v_mul_f64 v[2:3], v[178:179], v[26:27]
	v_add_f64 v[32:33], v[184:185], v[188:189]
	v_mul_f64 v[42:43], v[40:41], s[14:15]
	v_mul_f64 v[46:47], v[34:35], s[16:17]
	;; [unrolled: 1-line block ×4, first 2 shown]
	v_fma_f64 v[162:163], v[164:165], v[24:25], v[2:3]
	v_mul_f64 v[2:3], v[164:165], v[26:27]
	v_mul_f64 v[26:27], v[34:35], s[10:11]
	v_fma_f64 v[44:45], v[32:33], s[16:17], v[42:43]
	v_fma_f64 v[42:43], v[32:33], s[16:17], -v[42:43]
	v_fma_f64 v[56:57], v[32:33], s[22:23], v[52:53]
	v_fma_f64 v[52:53], v[32:33], s[22:23], -v[52:53]
	;; [unrolled: 2-line block ×3, first 2 shown]
	v_mul_f64 v[34:35], v[34:35], s[36:37]
	v_fma_f64 v[48:49], v[36:37], s[20:21], v[46:47]
	v_fma_f64 v[46:47], v[36:37], s[14:15], v[46:47]
	;; [unrolled: 1-line block ×6, first 2 shown]
	v_fma_f64 v[164:165], v[178:179], v[24:25], -v[2:3]
	v_mul_f64 v[24:25], v[40:41], s[6:7]
	v_mul_f64 v[40:41], v[40:41], s[34:35]
	v_add_f64 v[2:3], v[8:9], v[184:185]
	v_fma_f64 v[20:21], v[36:37], s[12:13], v[26:27]
	v_fma_f64 v[26:27], v[36:37], s[6:7], v[26:27]
	v_add_f64 v[44:45], v[8:9], v[44:45]
	v_add_f64 v[42:43], v[8:9], v[42:43]
	v_add_f64 v[56:57], v[8:9], v[56:57]
	v_add_f64 v[52:53], v[8:9], v[52:53]
	v_add_f64 v[94:95], v[8:9], v[94:95]
	v_add_f64 v[88:89], v[8:9], v[88:89]
	v_fma_f64 v[114:115], v[36:37], s[38:39], v[34:35]
	v_add_f64 v[48:49], v[12:13], v[48:49]
	v_add_f64 v[46:47], v[12:13], v[46:47]
	;; [unrolled: 1-line block ×6, first 2 shown]
	v_fma_f64 v[16:17], v[32:33], s[10:11], v[24:25]
	v_fma_f64 v[24:25], v[32:33], s[10:11], -v[24:25]
	v_fma_f64 v[110:111], v[32:33], s[36:37], v[40:41]
	v_fma_f64 v[32:33], v[32:33], s[36:37], -v[40:41]
	v_add_f64 v[40:41], v[174:175], -v[176:177]
	v_add_f64 v[20:21], v[12:13], v[20:21]
	v_add_f64 v[26:27], v[12:13], v[26:27]
	;; [unrolled: 1-line block ×8, first 2 shown]
	v_fma_f64 v[32:33], v[36:37], s[34:35], v[34:35]
	v_mul_f64 v[118:119], v[40:41], s[14:15]
	v_add_f64 v[34:35], v[174:175], v[176:177]
	v_add_f64 v[36:37], v[180:181], -v[182:183]
	v_add_f64 v[2:3], v[2:3], v[170:171]
	v_add_f64 v[12:13], v[12:13], v[32:33]
	;; [unrolled: 1-line block ×4, first 2 shown]
	v_fma_f64 v[128:129], v[32:33], s[16:17], v[118:119]
	v_fma_f64 v[118:119], v[32:33], s[16:17], -v[118:119]
	v_add_f64 v[2:3], v[2:3], v[120:121]
	v_add_f64 v[16:17], v[128:129], v[16:17]
	v_mul_f64 v[128:129], v[34:35], s[16:17]
	v_add_f64 v[24:25], v[118:119], v[24:25]
	v_add_f64 v[2:3], v[2:3], v[156:157]
	v_fma_f64 v[118:119], v[36:37], s[14:15], v[128:129]
	v_fma_f64 v[130:131], v[36:37], s[20:21], v[128:129]
	v_add_f64 v[2:3], v[2:3], v[116:117]
	v_add_f64 v[26:27], v[118:119], v[26:27]
	v_mul_f64 v[118:119], v[40:41], s[26:27]
	v_add_f64 v[20:21], v[130:131], v[20:21]
	v_add_f64 v[2:3], v[2:3], v[172:173]
	v_fma_f64 v[128:129], v[32:33], s[28:29], v[118:119]
	v_fma_f64 v[118:119], v[32:33], s[28:29], -v[118:119]
	v_add_f64 v[2:3], v[2:3], v[182:183]
	v_add_f64 v[44:45], v[128:129], v[44:45]
	v_mul_f64 v[128:129], v[34:35], s[28:29]
	v_add_f64 v[42:43], v[118:119], v[42:43]
	v_add_f64 v[2:3], v[2:3], v[188:189]
	v_fma_f64 v[118:119], v[36:37], s[26:27], v[128:129]
	v_fma_f64 v[130:131], v[36:37], s[30:31], v[128:129]
	v_add_f64 v[46:47], v[118:119], v[46:47]
	v_mul_f64 v[118:119], v[40:41], s[38:39]
	v_add_f64 v[48:49], v[130:131], v[48:49]
	v_fma_f64 v[128:129], v[32:33], s[36:37], v[118:119]
	v_fma_f64 v[118:119], v[32:33], s[36:37], -v[118:119]
	v_add_f64 v[56:57], v[128:129], v[56:57]
	v_mul_f64 v[128:129], v[34:35], s[36:37]
	v_add_f64 v[52:53], v[118:119], v[52:53]
	v_fma_f64 v[118:119], v[36:37], s[38:39], v[128:129]
	v_fma_f64 v[130:131], v[36:37], s[34:35], v[128:129]
	v_add_f64 v[58:59], v[118:119], v[58:59]
	v_mul_f64 v[118:119], v[40:41], s[24:25]
	v_mul_f64 v[40:41], v[40:41], s[12:13]
	v_add_f64 v[62:63], v[130:131], v[62:63]
	v_fma_f64 v[128:129], v[32:33], s[22:23], v[118:119]
	v_fma_f64 v[118:119], v[32:33], s[22:23], -v[118:119]
	v_add_f64 v[94:95], v[128:129], v[94:95]
	v_mul_f64 v[128:129], v[34:35], s[22:23]
	v_add_f64 v[88:89], v[118:119], v[88:89]
	v_mul_f64 v[34:35], v[34:35], s[10:11]
	v_fma_f64 v[118:119], v[36:37], s[24:25], v[128:129]
	v_fma_f64 v[130:131], v[36:37], s[18:19], v[128:129]
	v_add_f64 v[98:99], v[118:119], v[98:99]
	v_fma_f64 v[118:119], v[32:33], s[10:11], v[40:41]
	v_fma_f64 v[32:33], v[32:33], s[10:11], -v[40:41]
	v_add_f64 v[40:41], v[168:169], -v[112:113]
	v_add_f64 v[106:107], v[130:131], v[106:107]
	v_add_f64 v[110:111], v[118:119], v[110:111]
	;; [unrolled: 1-line block ×3, first 2 shown]
	v_fma_f64 v[32:33], v[36:37], s[12:13], v[34:35]
	v_fma_f64 v[118:119], v[36:37], s[6:7], v[34:35]
	v_add_f64 v[34:35], v[168:169], v[112:113]
	v_mul_f64 v[112:113], v[40:41], s[18:19]
	v_add_f64 v[36:37], v[170:171], -v[172:173]
	v_add_f64 v[12:13], v[32:33], v[12:13]
	v_add_f64 v[32:33], v[170:171], v[172:173]
	;; [unrolled: 1-line block ×3, first 2 shown]
	v_fma_f64 v[118:119], v[32:33], s[22:23], v[112:113]
	v_fma_f64 v[112:113], v[32:33], s[22:23], -v[112:113]
	v_add_f64 v[16:17], v[118:119], v[16:17]
	v_mul_f64 v[118:119], v[34:35], s[22:23]
	v_add_f64 v[24:25], v[112:113], v[24:25]
	v_fma_f64 v[112:113], v[36:37], s[18:19], v[118:119]
	v_fma_f64 v[128:129], v[36:37], s[24:25], v[118:119]
	v_add_f64 v[26:27], v[112:113], v[26:27]
	v_mul_f64 v[112:113], v[40:41], s[38:39]
	v_add_f64 v[20:21], v[128:129], v[20:21]
	v_fma_f64 v[118:119], v[32:33], s[36:37], v[112:113]
	v_fma_f64 v[112:113], v[32:33], s[36:37], -v[112:113]
	v_add_f64 v[44:45], v[118:119], v[44:45]
	v_mul_f64 v[118:119], v[34:35], s[36:37]
	v_add_f64 v[42:43], v[112:113], v[42:43]
	v_fma_f64 v[112:113], v[36:37], s[38:39], v[118:119]
	v_fma_f64 v[128:129], v[36:37], s[34:35], v[118:119]
	v_add_f64 v[46:47], v[112:113], v[46:47]
	v_mul_f64 v[112:113], v[40:41], s[20:21]
	v_add_f64 v[48:49], v[128:129], v[48:49]
	v_fma_f64 v[118:119], v[32:33], s[16:17], v[112:113]
	v_fma_f64 v[112:113], v[32:33], s[16:17], -v[112:113]
	v_add_f64 v[56:57], v[118:119], v[56:57]
	v_mul_f64 v[118:119], v[34:35], s[16:17]
	v_add_f64 v[52:53], v[112:113], v[52:53]
	v_fma_f64 v[112:113], v[36:37], s[20:21], v[118:119]
	v_fma_f64 v[128:129], v[36:37], s[14:15], v[118:119]
	v_add_f64 v[58:59], v[112:113], v[58:59]
	v_mul_f64 v[112:113], v[40:41], s[6:7]
	v_mul_f64 v[40:41], v[40:41], s[26:27]
	v_add_f64 v[62:63], v[128:129], v[62:63]
	v_fma_f64 v[118:119], v[32:33], s[10:11], v[112:113]
	v_fma_f64 v[112:113], v[32:33], s[10:11], -v[112:113]
	v_add_f64 v[94:95], v[118:119], v[94:95]
	v_mul_f64 v[118:119], v[34:35], s[10:11]
	v_add_f64 v[88:89], v[112:113], v[88:89]
	v_mul_f64 v[34:35], v[34:35], s[28:29]
	v_fma_f64 v[112:113], v[36:37], s[6:7], v[118:119]
	v_fma_f64 v[128:129], v[36:37], s[12:13], v[118:119]
	v_add_f64 v[98:99], v[112:113], v[98:99]
	v_fma_f64 v[112:113], v[32:33], s[28:29], v[40:41]
	v_fma_f64 v[32:33], v[32:33], s[28:29], -v[40:41]
	v_add_f64 v[40:41], v[160:161], -v[96:97]
	v_add_f64 v[106:107], v[128:129], v[106:107]
	v_add_f64 v[110:111], v[112:113], v[110:111]
	;; [unrolled: 1-line block ×3, first 2 shown]
	v_fma_f64 v[32:33], v[36:37], s[26:27], v[34:35]
	v_fma_f64 v[112:113], v[36:37], s[30:31], v[34:35]
	v_add_f64 v[34:35], v[160:161], v[96:97]
	v_mul_f64 v[96:97], v[40:41], s[26:27]
	v_add_f64 v[36:37], v[166:167], -v[116:117]
	v_add_f64 v[12:13], v[32:33], v[12:13]
	v_add_f64 v[32:33], v[166:167], v[116:117]
	;; [unrolled: 1-line block ×3, first 2 shown]
	v_fma_f64 v[114:115], v[32:33], s[28:29], v[96:97]
	v_fma_f64 v[96:97], v[32:33], s[28:29], -v[96:97]
	v_add_f64 v[16:17], v[114:115], v[16:17]
	v_mul_f64 v[114:115], v[34:35], s[28:29]
	v_add_f64 v[24:25], v[96:97], v[24:25]
	v_fma_f64 v[96:97], v[36:37], s[26:27], v[114:115]
	v_fma_f64 v[116:117], v[36:37], s[30:31], v[114:115]
	v_add_f64 v[26:27], v[96:97], v[26:27]
	v_mul_f64 v[96:97], v[40:41], s[24:25]
	v_add_f64 v[20:21], v[116:117], v[20:21]
	v_fma_f64 v[114:115], v[32:33], s[22:23], v[96:97]
	v_fma_f64 v[96:97], v[32:33], s[22:23], -v[96:97]
	v_add_f64 v[114:115], v[114:115], v[44:45]
	v_mul_f64 v[44:45], v[34:35], s[22:23]
	v_add_f64 v[42:43], v[96:97], v[42:43]
	v_fma_f64 v[116:117], v[36:37], s[18:19], v[44:45]
	v_fma_f64 v[44:45], v[36:37], s[24:25], v[44:45]
	v_add_f64 v[48:49], v[116:117], v[48:49]
	v_add_f64 v[46:47], v[44:45], v[46:47]
	v_mul_f64 v[44:45], v[40:41], s[6:7]
	v_fma_f64 v[96:97], v[32:33], s[10:11], v[44:45]
	v_fma_f64 v[44:45], v[32:33], s[10:11], -v[44:45]
	v_add_f64 v[56:57], v[96:97], v[56:57]
	v_mul_f64 v[96:97], v[34:35], s[10:11]
	v_add_f64 v[52:53], v[44:45], v[52:53]
	v_fma_f64 v[44:45], v[36:37], s[6:7], v[96:97]
	v_fma_f64 v[116:117], v[36:37], s[12:13], v[96:97]
	v_add_f64 v[58:59], v[44:45], v[58:59]
	v_mul_f64 v[44:45], v[40:41], s[34:35]
	v_mul_f64 v[40:41], v[40:41], s[20:21]
	v_add_f64 v[62:63], v[116:117], v[62:63]
	v_fma_f64 v[96:97], v[32:33], s[36:37], v[44:45]
	v_fma_f64 v[44:45], v[32:33], s[36:37], -v[44:45]
	v_add_f64 v[94:95], v[96:97], v[94:95]
	v_mul_f64 v[96:97], v[34:35], s[36:37]
	v_add_f64 v[118:119], v[44:45], v[88:89]
	v_mul_f64 v[34:35], v[34:35], s[16:17]
	v_fma_f64 v[44:45], v[36:37], s[34:35], v[96:97]
	v_fma_f64 v[116:117], v[36:37], s[38:39], v[96:97]
	v_add_f64 v[128:129], v[44:45], v[98:99]
	v_fma_f64 v[44:45], v[32:33], s[16:17], v[40:41]
	v_fma_f64 v[32:33], v[32:33], s[16:17], -v[40:41]
	v_add_f64 v[40:41], v[50:51], v[74:75]
	v_add_f64 v[116:117], v[116:117], v[106:107]
	;; [unrolled: 1-line block ×3, first 2 shown]
	v_fma_f64 v[44:45], v[36:37], s[14:15], v[34:35]
	v_add_f64 v[8:9], v[32:33], v[8:9]
	v_fma_f64 v[32:33], v[36:37], s[20:21], v[34:35]
	v_add_f64 v[36:37], v[120:121], v[156:157]
	v_add_f64 v[156:157], v[120:121], -v[156:157]
	v_add_f64 v[120:121], v[50:51], -v[74:75]
	v_add_f64 v[130:131], v[44:45], v[112:113]
	v_add_f64 v[32:33], v[32:33], v[12:13]
	v_mul_f64 v[12:13], v[120:121], s[34:35]
	v_fma_f64 v[34:35], v[36:37], s[36:37], v[12:13]
	v_fma_f64 v[12:13], v[36:37], s[36:37], -v[12:13]
	v_add_f64 v[44:45], v[34:35], v[16:17]
	v_mul_f64 v[16:17], v[40:41], s[36:37]
	v_add_f64 v[12:13], v[12:13], v[24:25]
	v_fma_f64 v[34:35], v[156:157], s[38:39], v[16:17]
	v_fma_f64 v[16:17], v[156:157], s[34:35], v[16:17]
	v_add_f64 v[96:97], v[34:35], v[20:21]
	v_add_f64 v[74:75], v[16:17], v[26:27]
	v_mul_f64 v[16:17], v[120:121], s[12:13]
	v_mul_f64 v[26:27], v[40:41], s[28:29]
	v_fma_f64 v[20:21], v[36:37], s[10:11], v[16:17]
	v_fma_f64 v[16:17], v[36:37], s[10:11], -v[16:17]
	v_add_f64 v[50:51], v[20:21], v[114:115]
	v_mul_f64 v[20:21], v[40:41], s[10:11]
	v_add_f64 v[16:17], v[16:17], v[42:43]
	v_fma_f64 v[24:25], v[156:157], s[6:7], v[20:21]
	v_fma_f64 v[20:21], v[156:157], s[12:13], v[20:21]
	v_add_f64 v[106:107], v[24:25], v[48:49]
	v_add_f64 v[88:89], v[20:21], v[46:47]
	v_mul_f64 v[20:21], v[120:121], s[26:27]
	v_fma_f64 v[24:25], v[36:37], s[28:29], v[20:21]
	v_fma_f64 v[20:21], v[36:37], s[28:29], -v[20:21]
	v_add_f64 v[56:57], v[24:25], v[56:57]
	v_fma_f64 v[24:25], v[156:157], s[30:31], v[26:27]
	v_add_f64 v[112:113], v[24:25], v[62:63]
	v_add_f64 v[24:25], v[20:21], v[52:53]
	v_fma_f64 v[20:21], v[156:157], s[26:27], v[26:27]
	v_add_f64 v[98:99], v[20:21], v[58:59]
	v_mul_f64 v[20:21], v[120:121], s[20:21]
	v_fma_f64 v[26:27], v[36:37], s[16:17], v[20:21]
	v_fma_f64 v[20:21], v[36:37], s[16:17], -v[20:21]
	v_add_f64 v[46:47], v[26:27], v[94:95]
	v_mul_f64 v[26:27], v[40:41], s[16:17]
	v_fma_f64 v[34:35], v[156:157], s[14:15], v[26:27]
	v_add_f64 v[116:117], v[34:35], v[116:117]
	v_add_f64 v[34:35], v[20:21], v[118:119]
	v_fma_f64 v[20:21], v[156:157], s[20:21], v[26:27]
	v_add_f64 v[114:115], v[20:21], v[128:129]
	v_mul_f64 v[20:21], v[120:121], s[18:19]
	v_fma_f64 v[26:27], v[36:37], s[22:23], v[20:21]
	v_fma_f64 v[20:21], v[36:37], s[22:23], -v[20:21]
	v_add_f64 v[36:37], v[92:93], -v[86:87]
	v_add_f64 v[48:49], v[26:27], v[110:111]
	v_mul_f64 v[26:27], v[40:41], s[22:23]
	v_mul_f64 v[42:43], v[36:37], s[6:7]
	;; [unrolled: 1-line block ×3, first 2 shown]
	v_fma_f64 v[40:41], v[156:157], s[24:25], v[26:27]
	v_add_f64 v[120:121], v[40:41], v[130:131]
	v_add_f64 v[40:41], v[20:21], v[8:9]
	v_fma_f64 v[8:9], v[156:157], s[18:19], v[26:27]
	v_add_f64 v[20:21], v[14:15], v[92:93]
	v_add_f64 v[26:27], v[84:85], -v[126:127]
	v_add_f64 v[118:119], v[8:9], v[32:33]
	v_add_f64 v[8:9], v[10:11], v[84:85]
	;; [unrolled: 1-line block ×22, first 2 shown]
	v_mul_f64 v[84:85], v[36:37], s[14:15]
	v_mul_f64 v[126:127], v[36:37], s[18:19]
	;; [unrolled: 1-line block ×8, first 2 shown]
	v_fma_f64 v[52:53], v[8:9], s[10:11], v[42:43]
	v_fma_f64 v[42:43], v[8:9], s[10:11], -v[42:43]
	v_fma_f64 v[86:87], v[8:9], s[16:17], v[84:85]
	v_fma_f64 v[84:85], v[8:9], s[16:17], -v[84:85]
	;; [unrolled: 2-line block ×5, first 2 shown]
	v_fma_f64 v[62:63], v[26:27], s[12:13], v[58:59]
	v_fma_f64 v[58:59], v[26:27], s[6:7], v[58:59]
	;; [unrolled: 1-line block ×9, first 2 shown]
	v_add_f64 v[36:37], v[104:105], -v[124:125]
	v_add_f64 v[52:53], v[10:11], v[52:53]
	v_add_f64 v[42:43], v[10:11], v[42:43]
	;; [unrolled: 1-line block ×10, first 2 shown]
	v_fma_f64 v[10:11], v[26:27], s[34:35], v[20:21]
	v_add_f64 v[62:63], v[14:15], v[62:63]
	v_add_f64 v[58:59], v[14:15], v[58:59]
	;; [unrolled: 1-line block ×9, first 2 shown]
	v_add_f64 v[26:27], v[100:101], -v[122:123]
	v_add_f64 v[20:21], v[104:105], v[124:125]
	v_add_f64 v[10:11], v[14:15], v[10:11]
	;; [unrolled: 1-line block ×3, first 2 shown]
	v_mul_f64 v[100:101], v[36:37], s[14:15]
	v_fma_f64 v[104:105], v[14:15], s[16:17], v[100:101]
	v_fma_f64 v[100:101], v[14:15], s[16:17], -v[100:101]
	v_add_f64 v[52:53], v[104:105], v[52:53]
	v_mul_f64 v[104:105], v[20:21], s[16:17]
	v_add_f64 v[42:43], v[100:101], v[42:43]
	v_fma_f64 v[100:101], v[26:27], s[14:15], v[104:105]
	v_fma_f64 v[122:123], v[26:27], s[20:21], v[104:105]
	v_add_f64 v[58:59], v[100:101], v[58:59]
	v_mul_f64 v[100:101], v[36:37], s[26:27]
	v_add_f64 v[62:63], v[122:123], v[62:63]
	v_fma_f64 v[104:105], v[14:15], s[28:29], v[100:101]
	v_fma_f64 v[100:101], v[14:15], s[28:29], -v[100:101]
	v_add_f64 v[86:87], v[104:105], v[86:87]
	v_mul_f64 v[104:105], v[20:21], s[28:29]
	v_add_f64 v[84:85], v[100:101], v[84:85]
	v_fma_f64 v[100:101], v[26:27], s[26:27], v[104:105]
	v_fma_f64 v[122:123], v[26:27], s[30:31], v[104:105]
	v_add_f64 v[92:93], v[100:101], v[92:93]
	v_mul_f64 v[100:101], v[36:37], s[38:39]
	v_add_f64 v[110:111], v[122:123], v[110:111]
	v_mul_f64 v[122:123], v[20:21], s[36:37]
	v_fma_f64 v[104:105], v[14:15], s[36:37], v[100:101]
	v_fma_f64 v[100:101], v[14:15], s[36:37], -v[100:101]
	v_fma_f64 v[124:125], v[26:27], s[34:35], v[122:123]
	v_fma_f64 v[122:123], v[26:27], s[38:39], v[122:123]
	v_add_f64 v[104:105], v[104:105], v[128:129]
	v_add_f64 v[100:101], v[100:101], v[126:127]
	v_mul_f64 v[126:127], v[36:37], s[24:25]
	v_mul_f64 v[36:37], v[36:37], s[12:13]
	v_add_f64 v[122:123], v[122:123], v[130:131]
	v_mul_f64 v[130:131], v[20:21], s[22:23]
	v_mul_f64 v[20:21], v[20:21], s[10:11]
	v_add_f64 v[124:125], v[124:125], v[156:157]
	v_fma_f64 v[128:129], v[14:15], s[22:23], v[126:127]
	v_fma_f64 v[126:127], v[14:15], s[22:23], -v[126:127]
	v_fma_f64 v[156:157], v[26:27], s[18:19], v[130:131]
	v_fma_f64 v[130:131], v[26:27], s[24:25], v[130:131]
	v_add_f64 v[128:129], v[128:129], v[166:167]
	v_add_f64 v[126:127], v[126:127], v[160:161]
	v_fma_f64 v[160:161], v[14:15], s[10:11], v[36:37]
	v_fma_f64 v[14:15], v[14:15], s[10:11], -v[36:37]
	v_add_f64 v[36:37], v[76:77], -v[108:109]
	v_fma_f64 v[166:167], v[26:27], s[6:7], v[20:21]
	v_add_f64 v[130:131], v[130:131], v[168:169]
	v_add_f64 v[156:157], v[156:157], v[170:171]
	;; [unrolled: 1-line block ×3, first 2 shown]
	v_add_f64 v[22:23], v[22:23], -v[38:39]
	v_add_f64 v[160:161], v[160:161], v[172:173]
	v_add_f64 v[8:9], v[14:15], v[8:9]
	v_fma_f64 v[14:15], v[26:27], s[12:13], v[20:21]
	v_add_f64 v[20:21], v[76:77], v[108:109]
	v_mul_f64 v[76:77], v[36:37], s[18:19]
	v_add_f64 v[26:27], v[82:83], -v[102:103]
	v_add_f64 v[166:167], v[166:167], v[174:175]
	v_mul_f64 v[38:39], v[168:169], s[28:29]
	v_add_f64 v[10:11], v[14:15], v[10:11]
	v_add_f64 v[14:15], v[82:83], v[102:103]
	v_fma_f64 v[82:83], v[14:15], s[22:23], v[76:77]
	v_fma_f64 v[76:77], v[14:15], s[22:23], -v[76:77]
	v_add_f64 v[52:53], v[82:83], v[52:53]
	v_mul_f64 v[82:83], v[20:21], s[22:23]
	v_add_f64 v[42:43], v[76:77], v[42:43]
	v_fma_f64 v[76:77], v[26:27], s[18:19], v[82:83]
	v_fma_f64 v[102:103], v[26:27], s[24:25], v[82:83]
	v_add_f64 v[58:59], v[76:77], v[58:59]
	v_mul_f64 v[76:77], v[36:37], s[38:39]
	v_add_f64 v[62:63], v[102:103], v[62:63]
	v_fma_f64 v[82:83], v[14:15], s[36:37], v[76:77]
	v_fma_f64 v[76:77], v[14:15], s[36:37], -v[76:77]
	v_add_f64 v[82:83], v[82:83], v[86:87]
	v_mul_f64 v[86:87], v[20:21], s[36:37]
	v_add_f64 v[76:77], v[76:77], v[84:85]
	v_fma_f64 v[102:103], v[26:27], s[34:35], v[86:87]
	v_fma_f64 v[84:85], v[26:27], s[38:39], v[86:87]
	v_mul_f64 v[86:87], v[36:37], s[20:21]
	v_add_f64 v[102:103], v[102:103], v[110:111]
	v_add_f64 v[84:85], v[84:85], v[92:93]
	v_fma_f64 v[92:93], v[14:15], s[16:17], v[86:87]
	v_fma_f64 v[86:87], v[14:15], s[16:17], -v[86:87]
	v_add_f64 v[92:93], v[92:93], v[104:105]
	v_mul_f64 v[104:105], v[20:21], s[16:17]
	v_add_f64 v[86:87], v[86:87], v[100:101]
	v_fma_f64 v[108:109], v[26:27], s[14:15], v[104:105]
	v_fma_f64 v[100:101], v[26:27], s[20:21], v[104:105]
	v_mul_f64 v[104:105], v[36:37], s[6:7]
	v_mul_f64 v[36:37], v[36:37], s[26:27]
	v_add_f64 v[108:109], v[108:109], v[124:125]
	v_add_f64 v[100:101], v[100:101], v[122:123]
	v_fma_f64 v[110:111], v[14:15], s[10:11], v[104:105]
	v_fma_f64 v[104:105], v[14:15], s[10:11], -v[104:105]
	v_mul_f64 v[122:123], v[20:21], s[10:11]
	v_mul_f64 v[20:21], v[20:21], s[28:29]
	v_add_f64 v[110:111], v[110:111], v[128:129]
	v_add_f64 v[104:105], v[104:105], v[126:127]
	v_fma_f64 v[126:127], v[14:15], s[28:29], v[36:37]
	v_fma_f64 v[14:15], v[14:15], s[28:29], -v[36:37]
	v_add_f64 v[36:37], v[66:67], -v[60:61]
	v_fma_f64 v[124:125], v[26:27], s[12:13], v[122:123]
	v_fma_f64 v[122:123], v[26:27], s[6:7], v[122:123]
	v_fma_f64 v[128:129], v[26:27], s[30:31], v[20:21]
	v_add_f64 v[126:127], v[126:127], v[160:161]
	v_add_f64 v[8:9], v[14:15], v[8:9]
	v_fma_f64 v[14:15], v[26:27], s[26:27], v[20:21]
	v_add_f64 v[26:27], v[54:55], -v[68:69]
	v_add_f64 v[20:21], v[66:67], v[60:61]
	v_add_f64 v[122:123], v[122:123], v[130:131]
	v_add_f64 v[124:125], v[124:125], v[156:157]
	v_add_f64 v[128:129], v[128:129], v[166:167]
	v_add_f64 v[10:11], v[14:15], v[10:11]
	v_add_f64 v[14:15], v[54:55], v[68:69]
	v_mul_f64 v[54:55], v[36:37], s[26:27]
	v_fma_f64 v[60:61], v[14:15], s[28:29], v[54:55]
	v_fma_f64 v[54:55], v[14:15], s[28:29], -v[54:55]
	v_add_f64 v[52:53], v[60:61], v[52:53]
	v_mul_f64 v[60:61], v[20:21], s[28:29]
	v_add_f64 v[42:43], v[54:55], v[42:43]
	v_fma_f64 v[66:67], v[26:27], s[30:31], v[60:61]
	v_fma_f64 v[54:55], v[26:27], s[26:27], v[60:61]
	v_add_f64 v[66:67], v[66:67], v[62:63]
	v_add_f64 v[54:55], v[54:55], v[58:59]
	v_mul_f64 v[58:59], v[36:37], s[24:25]
	v_mul_f64 v[62:63], v[20:21], s[22:23]
	v_fma_f64 v[60:61], v[14:15], s[22:23], v[58:59]
	v_fma_f64 v[68:69], v[26:27], s[18:19], v[62:63]
	v_fma_f64 v[58:59], v[14:15], s[22:23], -v[58:59]
	v_fma_f64 v[62:63], v[26:27], s[24:25], v[62:63]
	v_add_f64 v[60:61], v[60:61], v[82:83]
	v_add_f64 v[68:69], v[68:69], v[102:103]
	;; [unrolled: 1-line block ×4, first 2 shown]
	v_mul_f64 v[62:63], v[36:37], s[6:7]
	v_fma_f64 v[82:83], v[14:15], s[10:11], v[62:63]
	v_fma_f64 v[62:63], v[14:15], s[10:11], -v[62:63]
	v_add_f64 v[84:85], v[82:83], v[92:93]
	v_mul_f64 v[82:83], v[20:21], s[10:11]
	v_add_f64 v[102:103], v[62:63], v[86:87]
	v_fma_f64 v[62:63], v[26:27], s[6:7], v[82:83]
	v_fma_f64 v[92:93], v[26:27], s[12:13], v[82:83]
	v_add_f64 v[100:101], v[62:63], v[100:101]
	v_mul_f64 v[62:63], v[36:37], s[34:35]
	v_add_f64 v[92:93], v[92:93], v[108:109]
	v_mul_f64 v[36:37], v[36:37], s[20:21]
	v_fma_f64 v[82:83], v[14:15], s[36:37], v[62:63]
	v_fma_f64 v[62:63], v[14:15], s[36:37], -v[62:63]
	v_add_f64 v[108:109], v[82:83], v[110:111]
	v_mul_f64 v[82:83], v[20:21], s[36:37]
	v_add_f64 v[104:105], v[62:63], v[104:105]
	v_mul_f64 v[20:21], v[20:21], s[16:17]
	v_fma_f64 v[62:63], v[26:27], s[34:35], v[82:83]
	v_fma_f64 v[86:87], v[26:27], s[38:39], v[82:83]
	v_add_f64 v[156:157], v[62:63], v[122:123]
	v_fma_f64 v[62:63], v[14:15], s[16:17], v[36:37]
	v_fma_f64 v[14:15], v[14:15], s[16:17], -v[36:37]
	v_add_f64 v[110:111], v[86:87], v[124:125]
	v_add_f64 v[160:161], v[62:63], v[126:127]
	;; [unrolled: 1-line block ×3, first 2 shown]
	v_fma_f64 v[14:15], v[26:27], s[20:21], v[20:21]
	v_fma_f64 v[62:63], v[26:27], s[14:15], v[20:21]
	v_mul_f64 v[20:21], v[22:23], s[34:35]
	v_add_f64 v[10:11], v[14:15], v[10:11]
	v_add_f64 v[14:15], v[6:7], v[30:31]
	;; [unrolled: 1-line block ×3, first 2 shown]
	v_add_f64 v[6:7], v[6:7], -v[30:31]
	v_fma_f64 v[26:27], v[14:15], s[36:37], v[20:21]
	v_fma_f64 v[20:21], v[14:15], s[36:37], -v[20:21]
	v_add_f64 v[62:63], v[26:27], v[52:53]
	v_mul_f64 v[26:27], v[168:169], s[36:37]
	v_add_f64 v[20:21], v[20:21], v[42:43]
	v_fma_f64 v[30:31], v[6:7], s[38:39], v[26:27]
	v_fma_f64 v[26:27], v[6:7], s[34:35], v[26:27]
	v_add_f64 v[126:127], v[30:31], v[66:67]
	v_add_f64 v[82:83], v[26:27], v[54:55]
	v_mul_f64 v[26:27], v[22:23], s[12:13]
	v_fma_f64 v[30:31], v[14:15], s[10:11], v[26:27]
	v_fma_f64 v[26:27], v[14:15], s[10:11], -v[26:27]
	v_add_f64 v[130:131], v[30:31], v[60:61]
	v_mul_f64 v[30:31], v[168:169], s[10:11]
	v_add_f64 v[26:27], v[26:27], v[58:59]
	v_fma_f64 v[36:37], v[6:7], s[6:7], v[30:31]
	v_fma_f64 v[30:31], v[6:7], s[12:13], v[30:31]
	v_add_f64 v[128:129], v[36:37], v[68:69]
	v_add_f64 v[86:87], v[30:31], v[76:77]
	v_mul_f64 v[30:31], v[22:23], s[26:27]
	v_fma_f64 v[36:37], v[14:15], s[28:29], v[30:31]
	v_fma_f64 v[30:31], v[14:15], s[28:29], -v[30:31]
	v_add_f64 v[58:59], v[36:37], v[84:85]
	v_fma_f64 v[36:37], v[6:7], s[30:31], v[38:39]
	v_add_f64 v[122:123], v[36:37], v[92:93]
	v_add_f64 v[36:37], v[30:31], v[102:103]
	v_fma_f64 v[30:31], v[6:7], s[26:27], v[38:39]
	v_add_f64 v[100:101], v[30:31], v[100:101]
	v_mul_f64 v[30:31], v[22:23], s[20:21]
	v_mul_f64 v[22:23], v[22:23], s[18:19]
	v_fma_f64 v[38:39], v[14:15], s[16:17], v[30:31]
	v_fma_f64 v[30:31], v[14:15], s[16:17], -v[30:31]
	v_add_f64 v[60:61], v[38:39], v[108:109]
	v_mul_f64 v[38:39], v[168:169], s[16:17]
	v_fma_f64 v[42:43], v[6:7], s[14:15], v[38:39]
	v_add_f64 v[124:125], v[42:43], v[110:111]
	v_add_f64 v[42:43], v[30:31], v[104:105]
	v_fma_f64 v[30:31], v[6:7], s[20:21], v[38:39]
	v_add_f64 v[102:103], v[30:31], v[156:157]
	v_fma_f64 v[30:31], v[14:15], s[22:23], v[22:23]
	v_fma_f64 v[14:15], v[14:15], s[22:23], -v[22:23]
	v_add_f64 v[22:23], v[146:147], -v[164:165]
	v_add_f64 v[52:53], v[30:31], v[160:161]
	v_mul_f64 v[30:31], v[168:169], s[22:23]
	v_add_f64 v[54:55], v[14:15], v[8:9]
	v_add_f64 v[8:9], v[4:5], v[146:147]
	v_mul_f64 v[84:85], v[22:23], s[14:15]
	v_add_f64 v[14:15], v[144:145], -v[162:163]
	ds_write2_b64 v192, v[2:3], v[44:45] offset1:51
	ds_write2_b64 v192, v[50:51], v[56:57] offset0:102 offset1:153
	ds_write2_b64 v192, v[46:47], v[48:49] offset0:204 offset1:255
	;; [unrolled: 1-line block ×10, first 2 shown]
	v_fma_f64 v[38:39], v[6:7], s[24:25], v[30:31]
	v_fma_f64 v[6:7], v[6:7], s[18:19], v[30:31]
	v_add_f64 v[8:9], v[8:9], v[142:143]
	v_mul_f64 v[30:31], v[22:23], s[6:7]
	v_add_f64 v[108:109], v[38:39], v[166:167]
	v_add_f64 v[110:111], v[6:7], v[10:11]
	;; [unrolled: 1-line block ×5, first 2 shown]
	v_mul_f64 v[146:147], v[22:23], s[18:19]
	v_add_f64 v[6:7], v[6:7], v[140:141]
	v_add_f64 v[8:9], v[8:9], v[72:73]
	v_mul_f64 v[68:69], v[10:11], s[10:11]
	v_mul_f64 v[104:105], v[10:11], s[16:17]
	;; [unrolled: 1-line block ×5, first 2 shown]
	v_add_f64 v[6:7], v[6:7], v[132:133]
	v_add_f64 v[8:9], v[8:9], v[70:71]
	v_fma_f64 v[76:77], v[14:15], s[12:13], v[68:69]
	v_fma_f64 v[68:69], v[14:15], s[6:7], v[68:69]
	;; [unrolled: 1-line block ×5, first 2 shown]
	v_add_f64 v[6:7], v[6:7], v[78:79]
	v_add_f64 v[8:9], v[8:9], v[28:29]
	;; [unrolled: 1-line block ×16, first 2 shown]
	v_mul_f64 v[164:165], v[22:23], s[26:27]
	v_mul_f64 v[22:23], v[22:23], s[34:35]
	v_fma_f64 v[144:145], v[14:15], s[20:21], v[104:105]
	v_fma_f64 v[104:105], v[14:15], s[14:15], v[104:105]
	v_add_f64 v[6:7], v[6:7], v[158:159]
	v_fma_f64 v[38:39], v[8:9], s[10:11], v[30:31]
	v_fma_f64 v[30:31], v[8:9], s[10:11], -v[30:31]
	v_fma_f64 v[92:93], v[8:9], s[16:17], v[84:85]
	v_fma_f64 v[84:85], v[8:9], s[16:17], -v[84:85]
	;; [unrolled: 2-line block ×5, first 2 shown]
	v_add_f64 v[144:145], v[4:5], v[144:145]
	v_add_f64 v[104:105], v[4:5], v[104:105]
	;; [unrolled: 1-line block ×3, first 2 shown]
	v_fma_f64 v[162:163], v[14:15], s[24:25], v[160:161]
	v_add_f64 v[38:39], v[0:1], v[38:39]
	v_add_f64 v[30:31], v[0:1], v[30:31]
	;; [unrolled: 1-line block ×6, first 2 shown]
	v_fma_f64 v[160:161], v[14:15], s[18:19], v[160:161]
	v_add_f64 v[166:167], v[0:1], v[166:167]
	v_add_f64 v[164:165], v[0:1], v[164:165]
	;; [unrolled: 1-line block ×4, first 2 shown]
	v_fma_f64 v[8:9], v[14:15], s[34:35], v[10:11]
	v_add_f64 v[10:11], v[142:143], v[18:19]
	v_add_f64 v[18:19], v[142:143], -v[18:19]
	v_add_f64 v[14:15], v[140:141], -v[158:159]
	v_add_f64 v[162:163], v[4:5], v[162:163]
	v_add_f64 v[160:161], v[4:5], v[160:161]
	;; [unrolled: 1-line block ×4, first 2 shown]
	v_mul_f64 v[22:23], v[18:19], s[14:15]
	v_fma_f64 v[140:141], v[8:9], s[16:17], v[22:23]
	v_fma_f64 v[22:23], v[8:9], s[16:17], -v[22:23]
	v_add_f64 v[38:39], v[140:141], v[38:39]
	v_mul_f64 v[140:141], v[10:11], s[16:17]
	v_add_f64 v[22:23], v[22:23], v[30:31]
	v_fma_f64 v[30:31], v[14:15], s[14:15], v[140:141]
	v_fma_f64 v[142:143], v[14:15], s[20:21], v[140:141]
	v_add_f64 v[30:31], v[30:31], v[68:69]
	v_mul_f64 v[68:69], v[18:19], s[26:27]
	v_add_f64 v[76:77], v[142:143], v[76:77]
	v_fma_f64 v[140:141], v[8:9], s[28:29], v[68:69]
	v_fma_f64 v[68:69], v[8:9], s[28:29], -v[68:69]
	v_add_f64 v[92:93], v[140:141], v[92:93]
	v_mul_f64 v[140:141], v[10:11], s[28:29]
	v_add_f64 v[68:69], v[68:69], v[84:85]
	v_fma_f64 v[84:85], v[14:15], s[26:27], v[140:141]
	v_fma_f64 v[142:143], v[14:15], s[30:31], v[140:141]
	v_add_f64 v[84:85], v[84:85], v[104:105]
	v_mul_f64 v[104:105], v[18:19], s[38:39]
	v_add_f64 v[142:143], v[142:143], v[144:145]
	v_mul_f64 v[144:145], v[10:11], s[36:37]
	v_fma_f64 v[140:141], v[8:9], s[36:37], v[104:105]
	v_fma_f64 v[104:105], v[8:9], s[36:37], -v[104:105]
	v_add_f64 v[140:141], v[140:141], v[156:157]
	v_add_f64 v[104:105], v[104:105], v[146:147]
	v_mul_f64 v[146:147], v[18:19], s[24:25]
	v_fma_f64 v[156:157], v[14:15], s[34:35], v[144:145]
	v_fma_f64 v[144:145], v[14:15], s[38:39], v[144:145]
	v_mul_f64 v[18:19], v[18:19], s[12:13]
	v_fma_f64 v[158:159], v[8:9], s[22:23], v[146:147]
	v_fma_f64 v[146:147], v[8:9], s[22:23], -v[146:147]
	v_add_f64 v[144:145], v[144:145], v[160:161]
	v_mul_f64 v[160:161], v[10:11], s[22:23]
	v_mul_f64 v[10:11], v[10:11], s[10:11]
	v_add_f64 v[156:157], v[156:157], v[162:163]
	v_add_f64 v[158:159], v[158:159], v[166:167]
	;; [unrolled: 1-line block ×3, first 2 shown]
	v_fma_f64 v[164:165], v[8:9], s[10:11], v[18:19]
	v_fma_f64 v[8:9], v[8:9], s[10:11], -v[18:19]
	v_add_f64 v[18:19], v[134:135], -v[154:155]
	v_fma_f64 v[162:163], v[14:15], s[18:19], v[160:161]
	v_fma_f64 v[160:161], v[14:15], s[24:25], v[160:161]
	;; [unrolled: 1-line block ×3, first 2 shown]
	v_add_f64 v[164:165], v[164:165], v[172:173]
	v_add_f64 v[0:1], v[8:9], v[0:1]
	v_fma_f64 v[8:9], v[14:15], s[12:13], v[10:11]
	v_add_f64 v[14:15], v[132:133], -v[152:153]
	v_add_f64 v[10:11], v[134:135], v[154:155]
	v_add_f64 v[160:161], v[160:161], v[168:169]
	;; [unrolled: 1-line block ×6, first 2 shown]
	v_mul_f64 v[132:133], v[18:19], s[18:19]
	v_mul_f64 v[154:155], v[10:11], s[10:11]
	v_fma_f64 v[134:135], v[8:9], s[22:23], v[132:133]
	v_fma_f64 v[132:133], v[8:9], s[22:23], -v[132:133]
	v_add_f64 v[38:39], v[134:135], v[38:39]
	v_mul_f64 v[134:135], v[10:11], s[22:23]
	v_add_f64 v[22:23], v[132:133], v[22:23]
	v_fma_f64 v[132:133], v[14:15], s[18:19], v[134:135]
	v_fma_f64 v[152:153], v[14:15], s[24:25], v[134:135]
	v_add_f64 v[30:31], v[132:133], v[30:31]
	v_mul_f64 v[132:133], v[18:19], s[38:39]
	v_add_f64 v[76:77], v[152:153], v[76:77]
	v_fma_f64 v[134:135], v[8:9], s[36:37], v[132:133]
	v_fma_f64 v[132:133], v[8:9], s[36:37], -v[132:133]
	v_add_f64 v[92:93], v[134:135], v[92:93]
	v_mul_f64 v[134:135], v[10:11], s[36:37]
	v_add_f64 v[68:69], v[132:133], v[68:69]
	v_fma_f64 v[132:133], v[14:15], s[38:39], v[134:135]
	v_fma_f64 v[152:153], v[14:15], s[34:35], v[134:135]
	v_add_f64 v[84:85], v[132:133], v[84:85]
	v_mul_f64 v[132:133], v[18:19], s[20:21]
	v_add_f64 v[142:143], v[152:153], v[142:143]
	v_fma_f64 v[134:135], v[8:9], s[16:17], v[132:133]
	v_fma_f64 v[132:133], v[8:9], s[16:17], -v[132:133]
	v_add_f64 v[134:135], v[134:135], v[140:141]
	v_mul_f64 v[140:141], v[10:11], s[16:17]
	v_add_f64 v[104:105], v[132:133], v[104:105]
	v_mul_f64 v[10:11], v[10:11], s[28:29]
	v_fma_f64 v[152:153], v[14:15], s[14:15], v[140:141]
	v_fma_f64 v[132:133], v[14:15], s[20:21], v[140:141]
	v_mul_f64 v[140:141], v[18:19], s[6:7]
	v_mul_f64 v[18:19], v[18:19], s[26:27]
	v_add_f64 v[152:153], v[152:153], v[156:157]
	v_add_f64 v[132:133], v[132:133], v[144:145]
	v_fma_f64 v[144:145], v[8:9], s[10:11], v[140:141]
	v_fma_f64 v[140:141], v[8:9], s[10:11], -v[140:141]
	v_fma_f64 v[156:157], v[14:15], s[12:13], v[154:155]
	v_add_f64 v[144:145], v[144:145], v[158:159]
	v_add_f64 v[140:141], v[140:141], v[146:147]
	v_fma_f64 v[146:147], v[14:15], s[6:7], v[154:155]
	v_fma_f64 v[154:155], v[8:9], s[28:29], v[18:19]
	v_fma_f64 v[8:9], v[8:9], s[28:29], -v[18:19]
	v_add_f64 v[18:19], v[72:73], -v[150:151]
	v_fma_f64 v[158:159], v[14:15], s[30:31], v[10:11]
	v_add_f64 v[156:157], v[156:157], v[162:163]
	v_add_f64 v[162:163], v[80:81], -v[90:91]
	v_add_f64 v[146:147], v[146:147], v[160:161]
	v_add_f64 v[154:155], v[154:155], v[164:165]
	;; [unrolled: 1-line block ×3, first 2 shown]
	v_fma_f64 v[8:9], v[14:15], s[26:27], v[10:11]
	v_add_f64 v[10:11], v[72:73], v[150:151]
	v_mul_f64 v[72:73], v[18:19], s[26:27]
	v_add_f64 v[14:15], v[78:79], -v[148:149]
	v_add_f64 v[158:159], v[158:159], v[166:167]
	v_add_f64 v[164:165], v[70:71], -v[28:29]
	v_add_f64 v[160:161], v[70:71], v[28:29]
	v_add_f64 v[4:5], v[8:9], v[4:5]
	;; [unrolled: 1-line block ×3, first 2 shown]
	v_fma_f64 v[78:79], v[8:9], s[28:29], v[72:73]
	v_fma_f64 v[72:73], v[8:9], s[28:29], -v[72:73]
	v_add_f64 v[38:39], v[78:79], v[38:39]
	v_mul_f64 v[78:79], v[10:11], s[28:29]
	v_add_f64 v[22:23], v[72:73], v[22:23]
	v_fma_f64 v[72:73], v[14:15], s[26:27], v[78:79]
	v_fma_f64 v[148:149], v[14:15], s[30:31], v[78:79]
	v_add_f64 v[30:31], v[72:73], v[30:31]
	v_mul_f64 v[72:73], v[18:19], s[24:25]
	v_add_f64 v[76:77], v[148:149], v[76:77]
	v_fma_f64 v[78:79], v[8:9], s[22:23], v[72:73]
	v_fma_f64 v[72:73], v[8:9], s[22:23], -v[72:73]
	v_add_f64 v[78:79], v[78:79], v[92:93]
	v_mul_f64 v[92:93], v[10:11], s[22:23]
	v_add_f64 v[72:73], v[72:73], v[68:69]
	v_fma_f64 v[68:69], v[14:15], s[24:25], v[92:93]
	v_fma_f64 v[148:149], v[14:15], s[18:19], v[92:93]
	v_add_f64 v[84:85], v[68:69], v[84:85]
	v_mul_f64 v[68:69], v[18:19], s[6:7]
	v_add_f64 v[142:143], v[148:149], v[142:143]
	v_fma_f64 v[92:93], v[8:9], s[10:11], v[68:69]
	v_fma_f64 v[68:69], v[8:9], s[10:11], -v[68:69]
	v_add_f64 v[92:93], v[92:93], v[134:135]
	v_mul_f64 v[134:135], v[10:11], s[10:11]
	v_add_f64 v[150:151], v[68:69], v[104:105]
	v_fma_f64 v[68:69], v[14:15], s[6:7], v[134:135]
	v_fma_f64 v[148:149], v[14:15], s[12:13], v[134:135]
	v_add_f64 v[132:133], v[68:69], v[132:133]
	v_mul_f64 v[68:69], v[18:19], s[34:35]
	v_mul_f64 v[18:19], v[18:19], s[20:21]
	v_add_f64 v[148:149], v[148:149], v[152:153]
	v_fma_f64 v[104:105], v[8:9], s[36:37], v[68:69]
	v_fma_f64 v[68:69], v[8:9], s[36:37], -v[68:69]
	v_add_f64 v[134:135], v[104:105], v[144:145]
	v_mul_f64 v[104:105], v[10:11], s[36:37]
	v_add_f64 v[140:141], v[68:69], v[140:141]
	v_mul_f64 v[10:11], v[10:11], s[16:17]
	v_fma_f64 v[68:69], v[14:15], s[34:35], v[104:105]
	v_fma_f64 v[144:145], v[14:15], s[38:39], v[104:105]
	v_add_f64 v[146:147], v[68:69], v[146:147]
	v_fma_f64 v[68:69], v[8:9], s[16:17], v[18:19]
	v_fma_f64 v[8:9], v[8:9], s[16:17], -v[18:19]
	v_add_f64 v[144:145], v[144:145], v[156:157]
	v_add_f64 v[152:153], v[68:69], v[154:155]
	v_fma_f64 v[68:69], v[14:15], s[14:15], v[10:11]
	v_add_f64 v[156:157], v[8:9], v[0:1]
	v_fma_f64 v[0:1], v[14:15], s[20:21], v[10:11]
	v_add_f64 v[14:15], v[80:81], v[90:91]
	v_add_f64 v[154:155], v[68:69], v[158:159]
	;; [unrolled: 1-line block ×3, first 2 shown]
	v_mul_f64 v[0:1], v[164:165], s[34:35]
	v_fma_f64 v[4:5], v[14:15], s[36:37], v[0:1]
	v_fma_f64 v[0:1], v[14:15], s[36:37], -v[0:1]
	v_add_f64 v[38:39], v[4:5], v[38:39]
	v_mul_f64 v[4:5], v[160:161], s[36:37]
	v_add_f64 v[0:1], v[0:1], v[22:23]
	v_mul_f64 v[22:23], v[160:161], s[16:17]
	v_fma_f64 v[8:9], v[162:163], s[38:39], v[4:5]
	v_fma_f64 v[4:5], v[162:163], s[34:35], v[4:5]
	v_add_f64 v[104:105], v[8:9], v[76:77]
	v_add_f64 v[68:69], v[4:5], v[30:31]
	v_mul_f64 v[4:5], v[164:165], s[12:13]
	v_fma_f64 v[76:77], v[162:163], s[14:15], v[22:23]
	v_fma_f64 v[22:23], v[162:163], s[20:21], v[22:23]
	;; [unrolled: 1-line block ×3, first 2 shown]
	v_fma_f64 v[4:5], v[14:15], s[10:11], -v[4:5]
	v_add_f64 v[80:81], v[76:77], v[144:145]
	v_add_f64 v[76:77], v[22:23], v[146:147]
	;; [unrolled: 1-line block ×3, first 2 shown]
	v_mul_f64 v[8:9], v[160:161], s[10:11]
	v_add_f64 v[4:5], v[4:5], v[72:73]
	v_mul_f64 v[78:79], v[164:165], s[18:19]
	v_fma_f64 v[10:11], v[162:163], s[6:7], v[8:9]
	v_fma_f64 v[8:9], v[162:163], s[12:13], v[8:9]
	;; [unrolled: 1-line block ×3, first 2 shown]
	v_add_f64 v[90:91], v[10:11], v[142:143]
	v_add_f64 v[70:71], v[8:9], v[84:85]
	v_mul_f64 v[8:9], v[164:165], s[26:27]
	v_add_f64 v[22:23], v[22:23], v[152:153]
	v_fma_f64 v[10:11], v[14:15], s[28:29], v[8:9]
	v_fma_f64 v[8:9], v[14:15], s[28:29], -v[8:9]
	v_add_f64 v[30:31], v[10:11], v[92:93]
	v_mul_f64 v[10:11], v[160:161], s[28:29]
	v_add_f64 v[8:9], v[8:9], v[150:151]
	v_fma_f64 v[18:19], v[162:163], s[30:31], v[10:11]
	v_fma_f64 v[10:11], v[162:163], s[26:27], v[10:11]
	v_add_f64 v[92:93], v[18:19], v[148:149]
	v_add_f64 v[72:73], v[10:11], v[132:133]
	v_mul_f64 v[10:11], v[164:165], s[20:21]
	v_mul_f64 v[132:133], v[160:161], s[22:23]
	v_fma_f64 v[18:19], v[14:15], s[16:17], v[10:11]
	v_fma_f64 v[10:11], v[14:15], s[16:17], -v[10:11]
	v_fma_f64 v[14:15], v[14:15], s[22:23], -v[78:79]
	v_fma_f64 v[84:85], v[162:163], s[24:25], v[132:133]
	v_fma_f64 v[78:79], v[162:163], s[18:19], v[132:133]
	v_lshl_add_u32 v132, v210, 3, 0
	v_add_nc_u32_e32 v133, 0x2000, v132
	ds_write2_b64 v133, v[6:7], v[38:39] offset0:98 offset1:149
	ds_write2_b64 v133, v[28:29], v[30:31] offset0:200 offset1:251
	v_add_f64 v[18:19], v[18:19], v[134:135]
	v_add_f64 v[10:11], v[10:11], v[140:141]
	;; [unrolled: 1-line block ×3, first 2 shown]
	v_add_nc_u32_e32 v134, 0x2800, v132
	v_add_nc_u32_e32 v135, 0x2c00, v132
	ds_write2_b64 v134, v[18:19], v[22:23] offset0:46 offset1:97
	ds_write2_b64 v134, v[14:15], v[10:11] offset0:148 offset1:199
	;; [unrolled: 1-line block ×3, first 2 shown]
	ds_write_b64 v132, v[0:1] offset:13056
	s_waitcnt lgkmcnt(0)
	s_barrier
	buffer_gl0_inv
	ds_read2_b64 v[0:3], v192 offset1:51
	ds_read2_b64 v[16:19], v196 offset0:126 offset1:177
	ds_read2_b64 v[20:23], v200 offset0:98 offset1:149
	;; [unrolled: 1-line block ×15, first 2 shown]
	ds_read_b64 v[130:131], v192 offset:13056
	v_add_f64 v[84:85], v[84:85], v[154:155]
	v_add_f64 v[78:79], v[78:79], v[158:159]
	s_waitcnt lgkmcnt(0)
	s_barrier
	buffer_gl0_inv
	ds_write2_b64 v192, v[64:65], v[96:97] offset1:51
	ds_write2_b64 v192, v[106:107], v[112:113] offset0:102 offset1:153
	ds_write2_b64 v192, v[116:117], v[120:121] offset0:204 offset1:255
	;; [unrolled: 1-line block ×15, first 2 shown]
	ds_write_b64 v132, v[68:69] offset:13056
	s_waitcnt lgkmcnt(0)
	s_barrier
	buffer_gl0_inv
	s_and_saveexec_b32 s6, vcc_lo
	s_cbranch_execz .LBB0_19
; %bb.18:
	v_lshlrev_b32_e32 v128, 1, v198
	v_mov_b32_e32 v129, 0
	v_add_nc_u32_e32 v212, 0x2800, v192
	v_add_nc_u32_e32 v220, 0x1000, v192
	;; [unrolled: 1-line block ×3, first 2 shown]
	v_mul_hi_u32 v244, 0xd347a4bd, v199
	v_lshlrev_b64 v[64:65], 4, v[128:129]
	v_lshlrev_b32_e32 v128, 1, v199
	v_add_co_u32 v68, vcc_lo, s8, v64
	v_add_co_ci_u32_e32 v69, vcc_lo, s9, v65, vcc_lo
	v_lshlrev_b64 v[64:65], 4, v[128:129]
	v_add_co_u32 v66, vcc_lo, 0x2200, v68
	v_add_co_ci_u32_e32 v67, vcc_lo, 0, v69, vcc_lo
	v_lshlrev_b32_e32 v128, 1, v209
	v_add_co_u32 v70, vcc_lo, s8, v64
	v_add_co_ci_u32_e32 v71, vcc_lo, s9, v65, vcc_lo
	v_add_co_u32 v64, vcc_lo, 0x2000, v68
	v_add_co_ci_u32_e32 v65, vcc_lo, 0, v69, vcc_lo
	v_add_co_u32 v72, vcc_lo, 0x2000, v70
	v_lshlrev_b64 v[82:83], 4, v[128:129]
	v_add_co_ci_u32_e32 v73, vcc_lo, 0, v71, vcc_lo
	v_add_co_u32 v80, vcc_lo, 0x2200, v70
	v_lshlrev_b32_e32 v128, 1, v208
	v_add_co_ci_u32_e32 v81, vcc_lo, 0, v71, vcc_lo
	v_add_co_u32 v84, vcc_lo, s8, v82
	s_clause 0x3
	global_load_dwordx4 v[76:79], v[64:65], off offset:512
	global_load_dwordx4 v[68:71], v[66:67], off offset:16
	;; [unrolled: 1-line block ×4, first 2 shown]
	v_add_co_ci_u32_e32 v85, vcc_lo, s9, v83, vcc_lo
	v_lshlrev_b64 v[80:81], 4, v[128:129]
	v_add_co_u32 v82, vcc_lo, 0x2200, v84
	v_add_co_ci_u32_e32 v83, vcc_lo, 0, v85, vcc_lo
	v_lshlrev_b32_e32 v128, 1, v207
	v_add_co_u32 v86, vcc_lo, s8, v80
	v_add_co_ci_u32_e32 v87, vcc_lo, s9, v81, vcc_lo
	v_add_co_u32 v80, vcc_lo, 0x2000, v84
	v_add_co_ci_u32_e32 v81, vcc_lo, 0, v85, vcc_lo
	v_add_co_u32 v84, vcc_lo, 0x2000, v86
	v_lshlrev_b64 v[98:99], 4, v[128:129]
	v_add_co_ci_u32_e32 v85, vcc_lo, 0, v87, vcc_lo
	v_add_co_u32 v96, vcc_lo, 0x2200, v86
	v_lshlrev_b32_e32 v128, 1, v206
	v_add_co_ci_u32_e32 v97, vcc_lo, 0, v87, vcc_lo
	v_add_co_u32 v100, vcc_lo, s8, v98
	s_clause 0x3
	global_load_dwordx4 v[88:91], v[80:81], off offset:512
	global_load_dwordx4 v[92:95], v[82:83], off offset:16
	global_load_dwordx4 v[84:87], v[84:85], off offset:512
	global_load_dwordx4 v[80:83], v[96:97], off offset:16
	v_add_co_ci_u32_e32 v101, vcc_lo, s9, v99, vcc_lo
	v_lshlrev_b64 v[96:97], 4, v[128:129]
	v_add_co_u32 v98, vcc_lo, 0x2200, v100
	v_add_co_ci_u32_e32 v99, vcc_lo, 0, v101, vcc_lo
	v_lshlrev_b32_e32 v128, 1, v205
	v_add_co_u32 v102, vcc_lo, s8, v96
	v_add_co_ci_u32_e32 v103, vcc_lo, s9, v97, vcc_lo
	v_add_co_u32 v96, vcc_lo, 0x2000, v100
	v_add_co_ci_u32_e32 v97, vcc_lo, 0, v101, vcc_lo
	v_add_co_u32 v100, vcc_lo, 0x2000, v102
	v_lshlrev_b64 v[112:113], 4, v[128:129]
	v_add_co_ci_u32_e32 v101, vcc_lo, 0, v103, vcc_lo
	v_add_co_u32 v102, vcc_lo, 0x2200, v102
	v_lshlrev_b32_e32 v128, 1, v204
	v_add_co_ci_u32_e32 v103, vcc_lo, 0, v103, vcc_lo
	v_add_co_u32 v116, vcc_lo, s8, v112
	v_add_co_ci_u32_e32 v117, vcc_lo, s9, v113, vcc_lo
	v_lshlrev_b64 v[112:113], 4, v[128:129]
	v_add_co_u32 v114, vcc_lo, 0x2200, v116
	v_add_co_ci_u32_e32 v115, vcc_lo, 0, v117, vcc_lo
	v_lshlrev_b32_e32 v128, 1, v203
	v_add_co_u32 v118, vcc_lo, s8, v112
	v_add_co_ci_u32_e32 v119, vcc_lo, s9, v113, vcc_lo
	v_add_co_u32 v112, vcc_lo, 0x2000, v116
	v_add_co_ci_u32_e32 v113, vcc_lo, 0, v117, vcc_lo
	v_add_co_u32 v116, vcc_lo, 0x2000, v118
	v_lshlrev_b64 v[132:133], 4, v[128:129]
	v_add_co_ci_u32_e32 v117, vcc_lo, 0, v119, vcc_lo
	v_add_co_u32 v118, vcc_lo, 0x2200, v118
	v_add_co_ci_u32_e32 v119, vcc_lo, 0, v119, vcc_lo
	v_add_co_u32 v140, vcc_lo, s8, v132
	v_lshlrev_b32_e32 v128, 1, v137
	v_add_co_ci_u32_e32 v141, vcc_lo, s9, v133, vcc_lo
	v_add_co_u32 v132, vcc_lo, 0x2200, v140
	v_lshlrev_b64 v[134:135], 4, v[128:129]
	v_add_co_ci_u32_e32 v133, vcc_lo, 0, v141, vcc_lo
	v_add_co_u32 v140, vcc_lo, 0x2000, v140
	v_add_co_ci_u32_e32 v141, vcc_lo, 0, v141, vcc_lo
	v_add_co_u32 v134, vcc_lo, s8, v134
	v_lshlrev_b32_e32 v128, 1, v136
	v_add_co_ci_u32_e32 v135, vcc_lo, s9, v135, vcc_lo
	s_clause 0x9
	global_load_dwordx4 v[104:107], v[96:97], off offset:512
	global_load_dwordx4 v[108:111], v[98:99], off offset:16
	;; [unrolled: 1-line block ×10, first 2 shown]
	v_add_co_u32 v132, vcc_lo, 0x2000, v134
	v_lshlrev_b64 v[156:157], 4, v[128:129]
	v_add_co_ci_u32_e32 v133, vcc_lo, 0, v135, vcc_lo
	v_add_co_u32 v134, vcc_lo, 0x2200, v134
	v_add_co_ci_u32_e32 v135, vcc_lo, 0, v135, vcc_lo
	v_add_co_u32 v128, vcc_lo, s8, v156
	s_clause 0x1
	global_load_dwordx4 v[148:151], v[132:133], off offset:512
	global_load_dwordx4 v[152:155], v[134:135], off offset:16
	v_add_co_ci_u32_e32 v135, vcc_lo, s9, v157, vcc_lo
	v_add_co_u32 v132, vcc_lo, 0x2000, v128
	v_add_nc_u32_e32 v137, 0x2c00, v192
	v_add_co_ci_u32_e32 v133, vcc_lo, 0, v135, vcc_lo
	v_add_co_u32 v134, vcc_lo, 0x2200, v128
	v_add_co_ci_u32_e32 v135, vcc_lo, 0, v135, vcc_lo
	s_clause 0x1
	global_load_dwordx4 v[156:159], v[132:133], off offset:512
	global_load_dwordx4 v[160:163], v[134:135], off offset:16
	v_add_nc_u32_e32 v128, 0xc00, v192
	v_add_nc_u32_e32 v134, 0x1c00, v192
	;; [unrolled: 1-line block ×4, first 2 shown]
	ds_read_b64 v[196:197], v192 offset:13056
	ds_read2_b64 v[164:167], v192 offset0:204 offset1:255
	ds_read2_b64 v[168:171], v192 offset0:102 offset1:153
	ds_read2_b64 v[172:175], v192 offset1:51
	ds_read2_b64 v[176:179], v128 offset0:126 offset1:177
	ds_read2_b64 v[180:183], v134 offset0:124 offset1:175
	;; [unrolled: 1-line block ×5, first 2 shown]
	v_mov_b32_e32 v137, v129
	v_add_co_u32 v132, vcc_lo, s2, v138
	v_add_co_ci_u32_e32 v133, vcc_lo, s3, v139, vcc_lo
	v_lshlrev_b64 v[138:139], 4, v[136:137]
	ds_read2_b64 v[200:203], v135 offset0:50 offset1:101
	ds_read2_b64 v[204:207], v212 offset0:148 offset1:199
	;; [unrolled: 1-line block ×8, first 2 shown]
	v_sub_nc_u32_e32 v128, v199, v244
	v_add_co_u32 v228, vcc_lo, v132, v138
	v_add_co_ci_u32_e32 v229, vcc_lo, v133, v139, vcc_lo
	v_add_co_u32 v230, vcc_lo, 0x2000, v228
	v_add_co_ci_u32_e32 v231, vcc_lo, 0, v229, vcc_lo
	;; [unrolled: 2-line block ×6, first 2 shown]
	s_waitcnt vmcnt(21)
	v_mul_f64 v[138:139], v[62:63], v[78:79]
	s_waitcnt lgkmcnt(11)
	v_mul_f64 v[78:79], v[182:183], v[78:79]
	s_waitcnt vmcnt(19)
	v_mul_f64 v[232:233], v[60:61], v[74:75]
	v_mul_f64 v[74:75], v[180:181], v[74:75]
	;; [unrolled: 1-line block ×4, first 2 shown]
	v_fma_f64 v[138:139], v[76:77], v[182:183], -v[138:139]
	v_fma_f64 v[62:63], v[62:63], v[76:77], v[78:79]
	s_waitcnt vmcnt(18)
	v_mul_f64 v[76:77], v[58:59], v[66:67]
	s_waitcnt lgkmcnt(9)
	v_mul_f64 v[66:67], v[190:191], v[66:67]
	v_fma_f64 v[78:79], v[72:73], v[180:181], -v[232:233]
	v_fma_f64 v[60:61], v[60:61], v[72:73], v[74:75]
	v_fma_f64 v[196:197], v[68:69], v[196:197], -v[238:239]
	s_waitcnt vmcnt(17)
	v_mul_f64 v[72:73], v[54:55], v[90:91]
	s_waitcnt vmcnt(16)
	v_mul_f64 v[180:181], v[56:57], v[94:95]
	v_mul_f64 v[94:95], v[188:189], v[94:95]
	s_waitcnt lgkmcnt(8)
	v_mul_f64 v[74:75], v[194:195], v[90:91]
	s_waitcnt vmcnt(15)
	v_mul_f64 v[90:91], v[52:53], v[86:87]
	v_fma_f64 v[68:69], v[130:131], v[68:69], v[70:71]
	v_mul_f64 v[70:71], v[192:193], v[86:87]
	s_waitcnt vmcnt(14)
	v_mul_f64 v[86:87], v[50:51], v[82:83]
	s_waitcnt lgkmcnt(6)
	v_mul_f64 v[82:83], v[206:207], v[82:83]
	v_add_co_u32 v182, vcc_lo, 0x5000, v228
	v_add_co_ci_u32_e32 v183, vcc_lo, 0, v229, vcc_lo
	v_add_co_u32 v232, vcc_lo, 0x3000, v228
	v_add_co_ci_u32_e32 v233, vcc_lo, 0, v229, vcc_lo
	v_fma_f64 v[76:77], v[64:65], v[190:191], -v[76:77]
	v_fma_f64 v[58:59], v[58:59], v[64:65], v[66:67]
	v_fma_f64 v[72:73], v[88:89], v[194:195], -v[72:73]
	v_fma_f64 v[130:131], v[92:93], v[188:189], -v[180:181]
	v_fma_f64 v[56:57], v[56:57], v[92:93], v[94:95]
	v_fma_f64 v[54:55], v[54:55], v[88:89], v[74:75]
	v_fma_f64 v[90:91], v[84:85], v[192:193], -v[90:91]
	v_fma_f64 v[52:53], v[52:53], v[84:85], v[70:71]
	v_fma_f64 v[86:87], v[80:81], v[206:207], -v[86:87]
	v_fma_f64 v[50:51], v[50:51], v[80:81], v[82:83]
	s_waitcnt vmcnt(13)
	v_mul_f64 v[64:65], v[46:47], v[106:107]
	s_waitcnt vmcnt(12)
	v_mul_f64 v[66:67], v[48:49], v[110:111]
	s_waitcnt lgkmcnt(5)
	v_mul_f64 v[106:107], v[210:211], v[106:107]
	v_mul_f64 v[110:111], v[204:205], v[110:111]
	s_waitcnt vmcnt(11)
	v_mul_f64 v[92:93], v[44:45], v[98:99]
	s_waitcnt vmcnt(10)
	v_mul_f64 v[94:95], v[42:43], v[102:103]
	v_mul_f64 v[98:99], v[208:209], v[98:99]
	s_waitcnt lgkmcnt(4)
	v_mul_f64 v[102:103], v[214:215], v[102:103]
	s_waitcnt vmcnt(9)
	v_mul_f64 v[74:75], v[38:39], v[122:123]
	s_waitcnt vmcnt(8)
	v_mul_f64 v[88:89], v[40:41], v[126:127]
	s_waitcnt lgkmcnt(3)
	v_mul_f64 v[122:123], v[136:137], v[122:123]
	v_mul_f64 v[126:127], v[212:213], v[126:127]
	s_waitcnt vmcnt(7)
	v_mul_f64 v[70:71], v[36:37], v[114:115]
	s_waitcnt vmcnt(6)
	v_mul_f64 v[84:85], v[34:35], v[118:119]
	v_mul_f64 v[114:115], v[134:135], v[114:115]
	s_waitcnt lgkmcnt(2)
	v_mul_f64 v[118:119], v[218:219], v[118:119]
	s_waitcnt vmcnt(5)
	v_mul_f64 v[80:81], v[30:31], v[142:143]
	s_waitcnt vmcnt(4)
	v_mul_f64 v[82:83], v[32:33], v[146:147]
	s_waitcnt lgkmcnt(1)
	v_mul_f64 v[142:143], v[222:223], v[142:143]
	v_mul_f64 v[146:147], v[216:217], v[146:147]
	s_waitcnt vmcnt(3)
	v_mul_f64 v[180:181], v[28:29], v[150:151]
	s_waitcnt vmcnt(2)
	v_mul_f64 v[188:189], v[22:23], v[154:155]
	v_fma_f64 v[64:65], v[104:105], v[210:211], -v[64:65]
	v_fma_f64 v[66:67], v[108:109], v[204:205], -v[66:67]
	v_fma_f64 v[46:47], v[46:47], v[104:105], v[106:107]
	v_fma_f64 v[48:49], v[48:49], v[108:109], v[110:111]
	v_add_f64 v[104:105], v[138:139], v[196:197]
	v_add_f64 v[106:107], v[62:63], -v[68:69]
	v_add_f64 v[108:109], v[176:177], v[138:139]
	v_add_f64 v[110:111], v[62:63], v[68:69]
	;; [unrolled: 1-line block ×3, first 2 shown]
	v_mul_f64 v[150:151], v[220:221], v[150:151]
	v_fma_f64 v[94:95], v[100:101], v[214:215], -v[94:95]
	v_fma_f64 v[44:45], v[44:45], v[96:97], v[98:99]
	v_fma_f64 v[42:43], v[42:43], v[100:101], v[102:103]
	v_add_f64 v[98:99], v[60:61], -v[58:59]
	v_add_f64 v[100:101], v[186:187], v[78:79]
	v_add_f64 v[102:103], v[60:61], v[58:59]
	;; [unrolled: 1-line block ×3, first 2 shown]
	s_waitcnt vmcnt(1)
	v_mul_f64 v[190:191], v[18:19], v[158:159]
	s_waitcnt vmcnt(0)
	v_mul_f64 v[192:193], v[20:21], v[162:163]
	v_fma_f64 v[92:93], v[96:97], v[208:209], -v[92:93]
	s_waitcnt lgkmcnt(0)
	v_mul_f64 v[154:155], v[226:227], v[154:155]
	v_mul_f64 v[158:159], v[178:179], v[158:159]
	;; [unrolled: 1-line block ×3, first 2 shown]
	v_add_f64 v[96:97], v[78:79], v[76:77]
	v_fma_f64 v[88:89], v[124:125], v[212:213], -v[88:89]
	v_fma_f64 v[74:75], v[120:121], v[136:137], -v[74:75]
	v_fma_f64 v[38:39], v[38:39], v[120:121], v[122:123]
	v_fma_f64 v[120:121], v[40:41], v[124:125], v[126:127]
	v_add_f64 v[40:41], v[72:73], v[130:131]
	v_add_f64 v[124:125], v[184:185], v[72:73]
	;; [unrolled: 1-line block ×3, first 2 shown]
	v_fma_f64 v[70:71], v[112:113], v[134:135], -v[70:71]
	v_fma_f64 v[84:85], v[116:117], v[218:219], -v[84:85]
	v_fma_f64 v[36:37], v[36:37], v[112:113], v[114:115]
	v_fma_f64 v[112:113], v[34:35], v[116:117], v[118:119]
	v_add_f64 v[138:139], v[138:139], -v[196:197]
	v_add_f64 v[78:79], v[78:79], -v[76:77]
	v_add_f64 v[34:35], v[90:91], v[86:87]
	v_add_f64 v[114:115], v[52:53], -v[50:51]
	v_add_f64 v[116:117], v[202:203], v[90:91]
	v_add_f64 v[118:119], v[52:53], v[50:51]
	;; [unrolled: 1-line block ×3, first 2 shown]
	v_fma_f64 v[80:81], v[140:141], v[222:223], -v[80:81]
	v_fma_f64 v[82:83], v[144:145], v[216:217], -v[82:83]
	v_fma_f64 v[134:135], v[30:31], v[140:141], v[142:143]
	v_fma_f64 v[136:137], v[32:33], v[144:145], v[146:147]
	v_add_f64 v[140:141], v[64:65], v[66:67]
	v_add_f64 v[142:143], v[46:47], -v[48:49]
	v_add_f64 v[144:145], v[200:201], v[64:65]
	v_add_f64 v[146:147], v[46:47], v[48:49]
	v_add_f64 v[194:195], v[64:65], -v[66:67]
	v_add_f64 v[46:47], v[12:13], v[46:47]
	v_fma_f64 v[64:65], v[104:105], -0.5, v[176:177]
	v_add_f64 v[32:33], v[108:109], v[196:197]
	v_fma_f64 v[104:105], v[110:111], -0.5, v[16:17]
	v_add_f64 v[30:31], v[62:63], v[68:69]
	v_fma_f64 v[62:63], v[148:149], v[220:221], -v[180:181]
	v_fma_f64 v[108:109], v[152:153], v[226:227], -v[188:189]
	v_fma_f64 v[68:69], v[28:29], v[148:149], v[150:151]
	v_add_f64 v[28:29], v[100:101], v[76:77]
	v_fma_f64 v[76:77], v[102:103], -0.5, v[26:27]
	v_add_f64 v[26:27], v[60:61], v[58:59]
	v_fma_f64 v[58:59], v[156:157], v[178:179], -v[190:191]
	v_fma_f64 v[100:101], v[160:161], v[224:225], -v[192:193]
	v_fma_f64 v[110:111], v[22:23], v[152:153], v[154:155]
	v_add_f64 v[148:149], v[92:93], v[94:95]
	v_add_f64 v[152:153], v[166:167], v[92:93]
	v_add_f64 v[176:177], v[92:93], -v[94:95]
	v_add_f64 v[92:93], v[10:11], v[44:45]
	v_fma_f64 v[60:61], v[18:19], v[156:157], v[158:159]
	v_fma_f64 v[102:103], v[20:21], v[160:161], v[162:163]
	v_fma_f64 v[96:97], v[96:97], -0.5, v[186:187]
	v_add_f64 v[156:157], v[74:75], v[88:89]
	v_add_f64 v[162:163], v[38:39], v[120:121]
	v_add_f64 v[122:123], v[54:55], -v[56:57]
	v_add_f64 v[72:73], v[72:73], -v[130:131]
	v_add_f64 v[54:55], v[24:25], v[54:55]
	v_add_f64 v[160:161], v[164:165], v[74:75]
	v_add_f64 v[178:179], v[74:75], -v[88:89]
	v_add_f64 v[74:75], v[8:9], v[38:39]
	v_fma_f64 v[180:181], v[40:41], -0.5, v[184:185]
	v_add_f64 v[18:19], v[124:125], v[130:131]
	v_fma_f64 v[24:25], v[126:127], -0.5, v[24:25]
	v_add_f64 v[124:125], v[70:71], v[84:85]
	v_add_f64 v[184:185], v[36:37], v[112:113]
	v_add_f64 v[90:91], v[90:91], -v[86:87]
	v_add_f64 v[154:155], v[44:45], v[42:43]
	v_add_f64 v[158:159], v[38:39], -v[120:121]
	;; [unrolled: 2-line block ×3, first 2 shown]
	v_add_f64 v[70:71], v[6:7], v[36:37]
	v_fma_f64 v[188:189], v[34:35], -0.5, v[202:203]
	v_add_f64 v[22:23], v[116:117], v[86:87]
	v_fma_f64 v[86:87], v[118:119], -0.5, v[14:15]
	v_add_f64 v[20:21], v[52:53], v[50:51]
	v_add_f64 v[116:117], v[80:81], v[82:83]
	v_add_f64 v[118:119], v[134:135], -v[136:137]
	v_add_f64 v[190:191], v[168:169], v[80:81]
	v_add_f64 v[192:193], v[134:135], v[136:137]
	v_add_f64 v[196:197], v[80:81], -v[82:83]
	v_add_f64 v[80:81], v[4:5], v[134:135]
	v_fma_f64 v[134:135], v[140:141], -0.5, v[200:201]
	v_fma_f64 v[140:141], v[146:147], -0.5, v[12:13]
	v_add_f64 v[12:13], v[46:47], v[48:49]
	v_fma_f64 v[34:35], v[138:139], s[4:5], v[104:105]
	v_fma_f64 v[38:39], v[138:139], s[0:1], v[104:105]
	v_add_f64 v[104:105], v[62:63], v[108:109]
	v_fma_f64 v[46:47], v[78:79], s[4:5], v[76:77]
	v_fma_f64 v[50:51], v[78:79], s[0:1], v[76:77]
	v_add_f64 v[76:77], v[58:59], v[100:101]
	v_add_f64 v[150:151], v[44:45], -v[42:43]
	v_add_f64 v[14:15], v[144:145], v[66:67]
	v_add_f64 v[144:145], v[68:69], v[110:111]
	;; [unrolled: 1-line block ×9, first 2 shown]
	v_fma_f64 v[48:49], v[98:99], s[0:1], v[96:97]
	v_fma_f64 v[52:53], v[98:99], s[4:5], v[96:97]
	v_fma_f64 v[96:97], v[156:157], -0.5, v[164:165]
	v_fma_f64 v[98:99], v[162:163], -0.5, v[8:9]
	v_add_f64 v[16:17], v[54:55], v[56:57]
	v_add_f64 v[126:127], v[36:37], -v[112:113]
	v_fma_f64 v[148:149], v[148:149], -0.5, v[166:167]
	v_add_f64 v[166:167], v[58:59], -v[100:101]
	v_add_f64 v[8:9], v[74:75], v[120:121]
	v_fma_f64 v[54:55], v[72:73], s[4:5], v[24:25]
	v_fma_f64 v[58:59], v[72:73], s[0:1], v[24:25]
	v_fma_f64 v[24:25], v[124:125], -0.5, v[170:171]
	v_fma_f64 v[120:121], v[184:185], -0.5, v[6:7]
	v_fma_f64 v[36:37], v[106:107], s[0:1], v[64:65]
	v_fma_f64 v[40:41], v[106:107], s[4:5], v[64:65]
	v_add_f64 v[106:107], v[68:69], -v[110:111]
	v_add_f64 v[146:147], v[62:63], -v[108:109]
	v_fma_f64 v[152:153], v[154:155], -0.5, v[10:11]
	v_add_f64 v[154:155], v[60:61], -v[102:103]
	v_add_f64 v[62:63], v[70:71], v[112:113]
	v_fma_f64 v[112:113], v[116:117], -0.5, v[168:169]
	v_fma_f64 v[116:117], v[104:105], -0.5, v[174:175]
	;; [unrolled: 1-line block ×3, first 2 shown]
	v_fma_f64 v[56:57], v[122:123], s[0:1], v[180:181]
	v_fma_f64 v[60:61], v[122:123], s[4:5], v[180:181]
	;; [unrolled: 1-line block ×4, first 2 shown]
	v_fma_f64 v[114:115], v[192:193], -0.5, v[4:5]
	v_fma_f64 v[122:123], v[144:145], -0.5, v[2:3]
	;; [unrolled: 1-line block ×3, first 2 shown]
	v_add_f64 v[10:11], v[160:161], v[88:89]
	v_add_f64 v[64:65], v[130:131], v[84:85]
	;; [unrolled: 1-line block ×8, first 2 shown]
	v_fma_f64 v[66:67], v[90:91], s[4:5], v[86:87]
	v_fma_f64 v[70:71], v[90:91], s[0:1], v[86:87]
	;; [unrolled: 1-line block ×30, first 2 shown]
	global_store_dwordx4 v[242:243], v[8:11], off offset:1216
	global_store_dwordx4 v[242:243], v[62:65], off offset:400
	global_store_dwordx4 v[228:229], v[4:7], off offset:1632
	global_store_dwordx4 v[228:229], v[74:77], off offset:816
	global_store_dwordx4 v[228:229], v[78:81], off
	global_store_dwordx4 v[240:241], v[86:89], off offset:2000
	global_store_dwordx4 v[182:183], v[82:85], off offset:736
	;; [unrolled: 1-line block ×10, first 2 shown]
	v_mul_hi_u32 v10, 0xd347a4bd, v198
	v_lshrrev_b32_e32 v6, 1, v128
	v_add_co_u32 v4, vcc_lo, 0x1000, v228
	v_add_co_ci_u32_e32 v5, vcc_lo, 0, v229, vcc_lo
	v_add_nc_u32_e32 v8, v6, v244
	v_add_co_u32 v6, vcc_lo, 0x5800, v228
	global_store_dwordx4 v[242:243], v[42:45], off offset:2032
	global_store_dwordx4 v[232:233], v[138:141], off offset:768
	;; [unrolled: 1-line block ×4, first 2 shown]
	v_add_co_ci_u32_e32 v7, vcc_lo, 0, v229, vcc_lo
	v_sub_nc_u32_e32 v12, v198, v10
	v_lshrrev_b32_e32 v11, 9, v8
	v_add_co_u32 v8, vcc_lo, 0x3800, v228
	global_store_dwordx4 v[6:7], v[0:3], off offset:320
	v_lshrrev_b32_e32 v2, 1, v12
	v_add_co_ci_u32_e32 v9, vcc_lo, 0, v229, vcc_lo
	global_store_dwordx4 v[232:233], v[122:125], off offset:1584
	v_mad_u32_u24 v128, 0x462, v11, v199
	global_store_dwordx4 v[4:5], v[20:23], off offset:1616
	global_store_dwordx4 v[8:9], v[70:73], off offset:352
	;; [unrolled: 1-line block ×3, first 2 shown]
	v_add_nc_u32_e32 v4, v2, v10
	v_add_co_u32 v2, vcc_lo, 0x1800, v228
	v_lshlrev_b64 v[0:1], 4, v[128:129]
	v_add_co_ci_u32_e32 v3, vcc_lo, 0, v229, vcc_lo
	v_lshrrev_b32_e32 v4, 9, v4
	v_add_co_u32 v0, vcc_lo, v132, v0
	v_mad_u32_u24 v128, 0x462, v4, v198
	v_add_co_ci_u32_e32 v1, vcc_lo, v133, v1, vcc_lo
	global_store_dwordx4 v[2:3], v[16:19], off offset:384
	global_store_dwordx4 v[8:9], v[58:61], off offset:1168
	;; [unrolled: 1-line block ×3, first 2 shown]
	global_store_dwordx4 v[0:1], v[26:29], off
	v_add_co_u32 v4, vcc_lo, 0x2000, v0
	v_lshlrev_b64 v[2:3], 4, v[128:129]
	v_add_co_ci_u32_e32 v5, vcc_lo, 0, v1, vcc_lo
	v_add_co_u32 v2, vcc_lo, v132, v2
	v_add_co_ci_u32_e32 v3, vcc_lo, v133, v3, vcc_lo
	v_add_co_u32 v0, vcc_lo, 0x4000, v0
	;; [unrolled: 2-line block ×4, first 2 shown]
	v_add_co_ci_u32_e32 v9, vcc_lo, 0, v3, vcc_lo
	global_store_dwordx4 v[4:5], v[50:53], off offset:784
	global_store_dwordx4 v[0:1], v[46:49], off offset:1568
	global_store_dwordx4 v[2:3], v[30:33], off
	global_store_dwordx4 v[6:7], v[38:41], off offset:784
	global_store_dwordx4 v[8:9], v[34:37], off offset:1568
.LBB0_19:
	s_endpgm
	.section	.rodata,"a",@progbits
	.p2align	6, 0x0
	.amdhsa_kernel fft_rtc_back_len1683_factors_17_3_11_3_wgs_51_tpt_51_halfLds_dp_ip_CI_unitstride_sbrr_dirReg
		.amdhsa_group_segment_fixed_size 0
		.amdhsa_private_segment_fixed_size 0
		.amdhsa_kernarg_size 88
		.amdhsa_user_sgpr_count 6
		.amdhsa_user_sgpr_private_segment_buffer 1
		.amdhsa_user_sgpr_dispatch_ptr 0
		.amdhsa_user_sgpr_queue_ptr 0
		.amdhsa_user_sgpr_kernarg_segment_ptr 1
		.amdhsa_user_sgpr_dispatch_id 0
		.amdhsa_user_sgpr_flat_scratch_init 0
		.amdhsa_user_sgpr_private_segment_size 0
		.amdhsa_wavefront_size32 1
		.amdhsa_uses_dynamic_stack 0
		.amdhsa_system_sgpr_private_segment_wavefront_offset 0
		.amdhsa_system_sgpr_workgroup_id_x 1
		.amdhsa_system_sgpr_workgroup_id_y 0
		.amdhsa_system_sgpr_workgroup_id_z 0
		.amdhsa_system_sgpr_workgroup_info 0
		.amdhsa_system_vgpr_workitem_id 0
		.amdhsa_next_free_vgpr 252
		.amdhsa_next_free_sgpr 56
		.amdhsa_reserve_vcc 1
		.amdhsa_reserve_flat_scratch 0
		.amdhsa_float_round_mode_32 0
		.amdhsa_float_round_mode_16_64 0
		.amdhsa_float_denorm_mode_32 3
		.amdhsa_float_denorm_mode_16_64 3
		.amdhsa_dx10_clamp 1
		.amdhsa_ieee_mode 1
		.amdhsa_fp16_overflow 0
		.amdhsa_workgroup_processor_mode 1
		.amdhsa_memory_ordered 1
		.amdhsa_forward_progress 0
		.amdhsa_shared_vgpr_count 0
		.amdhsa_exception_fp_ieee_invalid_op 0
		.amdhsa_exception_fp_denorm_src 0
		.amdhsa_exception_fp_ieee_div_zero 0
		.amdhsa_exception_fp_ieee_overflow 0
		.amdhsa_exception_fp_ieee_underflow 0
		.amdhsa_exception_fp_ieee_inexact 0
		.amdhsa_exception_int_div_zero 0
	.end_amdhsa_kernel
	.text
.Lfunc_end0:
	.size	fft_rtc_back_len1683_factors_17_3_11_3_wgs_51_tpt_51_halfLds_dp_ip_CI_unitstride_sbrr_dirReg, .Lfunc_end0-fft_rtc_back_len1683_factors_17_3_11_3_wgs_51_tpt_51_halfLds_dp_ip_CI_unitstride_sbrr_dirReg
                                        ; -- End function
	.section	.AMDGPU.csdata,"",@progbits
; Kernel info:
; codeLenInByte = 31004
; NumSgprs: 58
; NumVgprs: 252
; ScratchSize: 0
; MemoryBound: 1
; FloatMode: 240
; IeeeMode: 1
; LDSByteSize: 0 bytes/workgroup (compile time only)
; SGPRBlocks: 7
; VGPRBlocks: 31
; NumSGPRsForWavesPerEU: 58
; NumVGPRsForWavesPerEU: 252
; Occupancy: 4
; WaveLimiterHint : 1
; COMPUTE_PGM_RSRC2:SCRATCH_EN: 0
; COMPUTE_PGM_RSRC2:USER_SGPR: 6
; COMPUTE_PGM_RSRC2:TRAP_HANDLER: 0
; COMPUTE_PGM_RSRC2:TGID_X_EN: 1
; COMPUTE_PGM_RSRC2:TGID_Y_EN: 0
; COMPUTE_PGM_RSRC2:TGID_Z_EN: 0
; COMPUTE_PGM_RSRC2:TIDIG_COMP_CNT: 0
	.text
	.p2alignl 6, 3214868480
	.fill 48, 4, 3214868480
	.type	__hip_cuid_7253c471fed126d5,@object ; @__hip_cuid_7253c471fed126d5
	.section	.bss,"aw",@nobits
	.globl	__hip_cuid_7253c471fed126d5
__hip_cuid_7253c471fed126d5:
	.byte	0                               ; 0x0
	.size	__hip_cuid_7253c471fed126d5, 1

	.ident	"AMD clang version 19.0.0git (https://github.com/RadeonOpenCompute/llvm-project roc-6.4.0 25133 c7fe45cf4b819c5991fe208aaa96edf142730f1d)"
	.section	".note.GNU-stack","",@progbits
	.addrsig
	.addrsig_sym __hip_cuid_7253c471fed126d5
	.amdgpu_metadata
---
amdhsa.kernels:
  - .args:
      - .actual_access:  read_only
        .address_space:  global
        .offset:         0
        .size:           8
        .value_kind:     global_buffer
      - .offset:         8
        .size:           8
        .value_kind:     by_value
      - .actual_access:  read_only
        .address_space:  global
        .offset:         16
        .size:           8
        .value_kind:     global_buffer
      - .actual_access:  read_only
        .address_space:  global
        .offset:         24
        .size:           8
        .value_kind:     global_buffer
      - .offset:         32
        .size:           8
        .value_kind:     by_value
      - .actual_access:  read_only
        .address_space:  global
        .offset:         40
        .size:           8
        .value_kind:     global_buffer
      - .actual_access:  read_only
        .address_space:  global
        .offset:         48
        .size:           8
        .value_kind:     global_buffer
      - .offset:         56
        .size:           4
        .value_kind:     by_value
      - .actual_access:  read_only
        .address_space:  global
        .offset:         64
        .size:           8
        .value_kind:     global_buffer
      - .actual_access:  read_only
        .address_space:  global
        .offset:         72
        .size:           8
        .value_kind:     global_buffer
      - .address_space:  global
        .offset:         80
        .size:           8
        .value_kind:     global_buffer
    .group_segment_fixed_size: 0
    .kernarg_segment_align: 8
    .kernarg_segment_size: 88
    .language:       OpenCL C
    .language_version:
      - 2
      - 0
    .max_flat_workgroup_size: 51
    .name:           fft_rtc_back_len1683_factors_17_3_11_3_wgs_51_tpt_51_halfLds_dp_ip_CI_unitstride_sbrr_dirReg
    .private_segment_fixed_size: 0
    .sgpr_count:     58
    .sgpr_spill_count: 0
    .symbol:         fft_rtc_back_len1683_factors_17_3_11_3_wgs_51_tpt_51_halfLds_dp_ip_CI_unitstride_sbrr_dirReg.kd
    .uniform_work_group_size: 1
    .uses_dynamic_stack: false
    .vgpr_count:     252
    .vgpr_spill_count: 0
    .wavefront_size: 32
    .workgroup_processor_mode: 1
amdhsa.target:   amdgcn-amd-amdhsa--gfx1030
amdhsa.version:
  - 1
  - 2
...

	.end_amdgpu_metadata
